;; amdgpu-corpus repo=ROCm/rocFFT kind=compiled arch=gfx1030 opt=O3
	.text
	.amdgcn_target "amdgcn-amd-amdhsa--gfx1030"
	.amdhsa_code_object_version 6
	.protected	bluestein_single_fwd_len784_dim1_dp_op_CI_CI ; -- Begin function bluestein_single_fwd_len784_dim1_dp_op_CI_CI
	.globl	bluestein_single_fwd_len784_dim1_dp_op_CI_CI
	.p2align	8
	.type	bluestein_single_fwd_len784_dim1_dp_op_CI_CI,@function
bluestein_single_fwd_len784_dim1_dp_op_CI_CI: ; @bluestein_single_fwd_len784_dim1_dp_op_CI_CI
; %bb.0:
	s_load_dwordx4 s[12:15], s[4:5], 0x28
	v_mul_u32_u24_e32 v1, 0x493, v0
	s_mov_b64 s[38:39], s[2:3]
	s_mov_b64 s[36:37], s[0:1]
	v_mov_b32_e32 v3, 0
	s_add_u32 s36, s36, s7
	v_lshrrev_b32_e32 v1, 16, v1
	s_addc_u32 s37, s37, 0
	s_mov_b32 s0, exec_lo
	v_add_nc_u32_e32 v2, s6, v1
	s_waitcnt lgkmcnt(0)
	v_cmpx_gt_u64_e64 s[12:13], v[2:3]
	s_cbranch_execz .LBB0_2
; %bb.1:
	s_clause 0x1
	s_load_dwordx4 s[0:3], s[4:5], 0x18
	s_load_dwordx4 s[8:11], s[4:5], 0x0
	v_mov_b32_e32 v4, v2
	v_mul_lo_u16 v1, v1, 56
	s_mov_b32 s21, 0xbfe11646
	s_mov_b32 s20, 0xe976ee23
	;; [unrolled: 1-line block ×4, first 2 shown]
	v_sub_nc_u16 v0, v0, v1
	s_mov_b32 s28, 0xb247c609
	s_mov_b32 s27, 0xbfe77f67
	;; [unrolled: 1-line block ×4, first 2 shown]
	v_and_b32_e32 v168, 0xffff, v0
	s_mov_b32 s22, s28
	s_load_dwordx2 s[4:5], s[4:5], 0x38
	v_lshlrev_b32_e32 v169, 4, v168
	v_lshlrev_b32_e32 v164, 5, v168
	s_waitcnt lgkmcnt(0)
	s_load_dwordx4 s[16:19], s[0:1], 0x0
	buffer_store_dword v4, off, s[36:39], 0 ; 4-byte Folded Spill
	buffer_store_dword v5, off, s[36:39], 0 offset:4 ; 4-byte Folded Spill
	s_add_u32 s30, s8, 0x3100
	s_addc_u32 s31, s9, 0
	s_waitcnt lgkmcnt(0)
	v_mad_u64_u32 v[0:1], null, s18, v2, 0
	v_mad_u64_u32 v[2:3], null, s16, v168, 0
	s_mul_hi_u32 s6, s16, 0x1880
	s_mul_i32 s1, s16, 0x1880
	s_mul_i32 s12, s17, 0xffffeb00
	;; [unrolled: 1-line block ×3, first 2 shown]
	v_mad_u64_u32 v[4:5], null, s19, v4, v[1:2]
	v_or_b32_e32 v1, 0x1c0, v168
	s_mov_b32 s18, 0x5476071b
	s_mov_b32 s19, 0x3fe77f67
	;; [unrolled: 1-line block ×3, first 2 shown]
	v_mov_b32_e32 v9, v1
	v_mad_u64_u32 v[5:6], null, s17, v168, v[3:4]
	v_mad_u64_u32 v[6:7], null, s16, v1, 0
	v_mov_b32_e32 v1, v4
	buffer_store_dword v9, off, s[36:39], 0 offset:8 ; 4-byte Folded Spill
	v_mov_b32_e32 v3, v5
	v_lshlrev_b64 v[0:1], 4, v[0:1]
	v_mov_b32_e32 v4, v7
	v_lshlrev_b64 v[2:3], 4, v[2:3]
	v_add_co_u32 v5, vcc_lo, s14, v0
	v_add_co_ci_u32_e32 v8, vcc_lo, s15, v1, vcc_lo
	s_mov_b32 s15, 0x3febfeb5
	v_mad_u64_u32 v[0:1], null, s17, v9, v[4:5]
	v_add_co_u32 v1, vcc_lo, v5, v2
	v_add_co_ci_u32_e32 v2, vcc_lo, v8, v3, vcc_lo
	global_load_dwordx4 v[24:27], v169, s[8:9]
	global_load_dwordx4 v[16:19], v[1:2], off
	v_mov_b32_e32 v7, v0
	v_lshlrev_b32_e32 v0, 4, v9
	v_lshlrev_b64 v[3:4], 4, v[6:7]
	buffer_store_dword v0, off, s[36:39], 0 offset:92 ; 4-byte Folded Spill
	v_add_co_u32 v3, vcc_lo, v5, v3
	v_add_co_ci_u32_e32 v4, vcc_lo, v8, v4, vcc_lo
	global_load_dwordx4 v[12:15], v0, s[8:9]
	global_load_dwordx4 v[20:23], v[3:4], off
	v_add_co_u32 v0, s0, s8, v169
	v_add_co_ci_u32_e64 v11, null, s9, 0, s0
	s_mul_i32 s0, s17, 0x1880
	v_add_co_u32 v3, vcc_lo, 0x1800, v0
	v_add_co_ci_u32_e32 v4, vcc_lo, 0, v11, vcc_lo
	s_add_i32 s0, s6, s0
	v_add_co_u32 v1, vcc_lo, v1, s1
	v_add_co_ci_u32_e32 v2, vcc_lo, s0, v2, vcc_lo
	global_load_dwordx4 v[28:31], v[3:4], off offset:128
	global_load_dwordx4 v[36:39], v[1:2], off
	s_mul_hi_u32 s6, s16, 0xffffeb00
	v_add_co_u32 v1, vcc_lo, v1, s7
	s_sub_i32 s6, s6, s16
	s_add_i32 s6, s6, s12
	s_mov_b32 s12, 0xaaaaaaaa
	v_add_co_ci_u32_e32 v2, vcc_lo, s6, v2, vcc_lo
	global_load_dwordx4 v[32:35], v169, s[8:9] offset:896
	global_load_dwordx4 v[40:43], v[1:2], off
	v_mad_u64_u32 v[1:2], null, 0x380, s16, v[1:2]
	s_mov_b32 s13, 0xbff2aaaa
	v_mad_u64_u32 v[5:6], null, 0x380, s17, v[2:3]
	s_mov_b32 s16, 0x429ad128
	s_mov_b32 s17, 0xbfebfeb5
	;; [unrolled: 1-line block ×3, first 2 shown]
	v_mov_b32_e32 v2, v5
	global_load_dwordx4 v[188:191], v169, s[8:9] offset:1792
	global_load_dwordx4 v[44:47], v[1:2], off
	v_add_co_u32 v1, vcc_lo, v1, s1
	v_add_co_ci_u32_e32 v2, vcc_lo, s0, v2, vcc_lo
	global_load_dwordx4 v[184:187], v[3:4], off offset:1920
	global_load_dwordx4 v[48:51], v[1:2], off
	v_add_co_u32 v1, vcc_lo, v1, s7
	v_add_co_ci_u32_e32 v2, vcc_lo, s6, v2, vcc_lo
	v_add_co_u32 v3, vcc_lo, 0x800, v0
	v_add_co_ci_u32_e32 v4, vcc_lo, 0, v11, vcc_lo
	global_load_dwordx4 v[52:55], v[1:2], off
	global_load_dwordx4 v[180:183], v[3:4], off offset:640
	s_mov_b32 s9, 0x3fdc38aa
	s_mov_b32 s8, 0x37c3f68c
	s_waitcnt vmcnt(13)
	buffer_store_dword v24, off, s[36:39], 0 offset:76 ; 4-byte Folded Spill
	buffer_store_dword v25, off, s[36:39], 0 offset:80 ; 4-byte Folded Spill
	buffer_store_dword v26, off, s[36:39], 0 offset:84 ; 4-byte Folded Spill
	buffer_store_dword v27, off, s[36:39], 0 offset:88 ; 4-byte Folded Spill
	s_waitcnt vmcnt(11)
	buffer_store_dword v12, off, s[36:39], 0 offset:28 ; 4-byte Folded Spill
	buffer_store_dword v13, off, s[36:39], 0 offset:32 ; 4-byte Folded Spill
	buffer_store_dword v14, off, s[36:39], 0 offset:36 ; 4-byte Folded Spill
	buffer_store_dword v15, off, s[36:39], 0 offset:40 ; 4-byte Folded Spill
	;; [unrolled: 5-line block ×4, first 2 shown]
	global_load_dwordx4 v[176:179], v[3:4], off offset:1536
	s_waitcnt vmcnt(1)
	v_mul_f64 v[3:4], v[54:55], v[182:183]
	v_fma_f64 v[80:81], v[52:53], v[180:181], v[3:4]
	v_add_co_u32 v3, vcc_lo, 0x2000, v0
	v_add_co_ci_u32_e32 v4, vcc_lo, 0, v11, vcc_lo
	v_add_co_u32 v1, vcc_lo, v1, s1
	v_add_co_ci_u32_e32 v2, vcc_lo, s0, v2, vcc_lo
	v_mul_f64 v[5:6], v[18:19], v[26:27]
	v_mul_f64 v[7:8], v[16:17], v[26:27]
	;; [unrolled: 1-line block ×3, first 2 shown]
	v_fma_f64 v[56:57], v[16:17], v[24:25], v[5:6]
	v_mul_f64 v[5:6], v[20:21], v[14:15]
	v_fma_f64 v[58:59], v[18:19], v[24:25], -v[7:8]
	v_mul_f64 v[7:8], v[38:39], v[30:31]
	v_fma_f64 v[60:61], v[20:21], v[12:13], v[9:10]
	v_fma_f64 v[62:63], v[22:23], v[12:13], -v[5:6]
	v_mul_f64 v[5:6], v[36:37], v[30:31]
	v_mul_f64 v[9:10], v[42:43], v[34:35]
	v_fma_f64 v[64:65], v[36:37], v[28:29], v[7:8]
	v_mul_f64 v[7:8], v[44:45], v[190:191]
	v_fma_f64 v[66:67], v[38:39], v[28:29], -v[5:6]
	v_mul_f64 v[5:6], v[40:41], v[34:35]
	v_fma_f64 v[68:69], v[40:41], v[32:33], v[9:10]
	v_mul_f64 v[9:10], v[50:51], v[186:187]
	v_fma_f64 v[74:75], v[46:47], v[188:189], -v[7:8]
	v_fma_f64 v[70:71], v[42:43], v[32:33], -v[5:6]
	v_mul_f64 v[5:6], v[46:47], v[190:191]
	v_fma_f64 v[76:77], v[48:49], v[184:185], v[9:10]
	v_fma_f64 v[72:73], v[44:45], v[188:189], v[5:6]
	s_clause 0x1
	global_load_dwordx4 v[44:47], v[3:4], off offset:768
	global_load_dwordx4 v[172:175], v[3:4], off offset:1664
	global_load_dwordx4 v[16:19], v[1:2], off
	v_mul_f64 v[5:6], v[48:49], v[186:187]
	v_add_co_u32 v1, vcc_lo, v1, s7
	v_add_co_ci_u32_e32 v2, vcc_lo, s6, v2, vcc_lo
	v_fma_f64 v[78:79], v[50:51], v[184:185], -v[5:6]
	v_mul_f64 v[5:6], v[52:53], v[182:183]
	v_fma_f64 v[82:83], v[54:55], v[180:181], -v[5:6]
	s_waitcnt vmcnt(0)
	v_mul_f64 v[3:4], v[18:19], v[46:47]
	v_mul_f64 v[5:6], v[16:17], v[46:47]
	v_fma_f64 v[84:85], v[16:17], v[44:45], v[3:4]
	v_fma_f64 v[86:87], v[18:19], v[44:45], -v[5:6]
	global_load_dwordx4 v[16:19], v[1:2], off
	v_add_co_u32 v1, vcc_lo, v1, s1
	v_add_co_ci_u32_e32 v2, vcc_lo, s0, v2, vcc_lo
	s_waitcnt vmcnt(0)
	v_mul_f64 v[3:4], v[18:19], v[178:179]
	v_mul_f64 v[5:6], v[16:17], v[178:179]
	v_fma_f64 v[88:89], v[16:17], v[176:177], v[3:4]
	v_fma_f64 v[90:91], v[18:19], v[176:177], -v[5:6]
	global_load_dwordx4 v[16:19], v[1:2], off
	v_add_co_u32 v1, vcc_lo, v1, s7
	v_add_co_ci_u32_e32 v2, vcc_lo, s6, v2, vcc_lo
	s_waitcnt vmcnt(0)
	v_mul_f64 v[3:4], v[18:19], v[174:175]
	v_mul_f64 v[5:6], v[16:17], v[174:175]
	v_fma_f64 v[92:93], v[16:17], v[172:173], v[3:4]
	v_add_co_u32 v3, vcc_lo, 0x1000, v0
	v_add_co_ci_u32_e32 v4, vcc_lo, 0, v11, vcc_lo
	v_fma_f64 v[94:95], v[18:19], v[172:173], -v[5:6]
	s_clause 0x1
	global_load_dwordx4 v[48:51], v[3:4], off offset:384
	global_load_dwordx4 v[192:195], v[3:4], off offset:1280
	global_load_dwordx4 v[16:19], v[1:2], off
	v_add_co_u32 v1, vcc_lo, v1, s1
	v_add_co_ci_u32_e32 v2, vcc_lo, s0, v2, vcc_lo
	s_waitcnt vmcnt(0)
	v_mul_f64 v[3:4], v[18:19], v[50:51]
	v_mul_f64 v[5:6], v[16:17], v[50:51]
	v_fma_f64 v[96:97], v[16:17], v[48:49], v[3:4]
	v_add_co_u32 v3, vcc_lo, 0x2800, v0
	v_add_co_ci_u32_e32 v4, vcc_lo, 0, v11, vcc_lo
	s_clause 0x1
	global_load_dwordx4 v[52:55], v[3:4], off offset:512
	global_load_dwordx4 v[7:10], v[3:4], off offset:1408
	global_load_dwordx4 v[100:103], v[1:2], off
	v_add_co_u32 v1, vcc_lo, v1, s7
	v_add_co_ci_u32_e32 v2, vcc_lo, s6, v2, vcc_lo
	v_fma_f64 v[98:99], v[18:19], v[48:49], -v[5:6]
	s_mov_b32 s6, 0x36b3c0b5
	s_mov_b32 s7, 0x3fac98ee
	global_load_dwordx4 v[104:107], v[1:2], off
	v_add_co_u32 v1, vcc_lo, v1, s1
	v_add_co_ci_u32_e32 v2, vcc_lo, s0, v2, vcc_lo
	global_load_dwordx4 v[108:111], v[1:2], off
	s_waitcnt vmcnt(3)
	buffer_store_dword v7, off, s[36:39], 0 offset:12 ; 4-byte Folded Spill
	buffer_store_dword v8, off, s[36:39], 0 offset:16 ; 4-byte Folded Spill
	;; [unrolled: 1-line block ×4, first 2 shown]
	s_waitcnt vmcnt(2)
	v_mul_f64 v[3:4], v[102:103], v[54:55]
	v_mul_f64 v[5:6], v[100:101], v[54:55]
	ds_write_b128 v169, v[56:59]
	ds_write_b128 v169, v[60:63] offset:7168
	ds_write_b128 v169, v[64:67] offset:6272
	;; [unrolled: 1-line block ×10, first 2 shown]
	s_load_dwordx4 s[0:3], s[2:3], 0x0
	v_fma_f64 v[100:101], v[100:101], v[52:53], v[3:4]
	s_waitcnt vmcnt(1)
	v_mul_f64 v[3:4], v[106:107], v[194:195]
	v_fma_f64 v[102:103], v[102:103], v[52:53], -v[5:6]
	v_mul_f64 v[5:6], v[104:105], v[194:195]
	v_fma_f64 v[104:105], v[104:105], v[192:193], v[3:4]
	v_fma_f64 v[106:107], v[106:107], v[192:193], -v[5:6]
	s_waitcnt vmcnt(0)
	v_mul_f64 v[1:2], v[110:111], v[9:10]
	v_mul_f64 v[3:4], v[108:109], v[9:10]
	v_fma_f64 v[108:109], v[108:109], v[7:8], v[1:2]
	v_fma_f64 v[110:111], v[110:111], v[7:8], -v[3:4]
	ds_write_b128 v169, v[100:103] offset:10752
	ds_write_b128 v169, v[104:107] offset:5376
	;; [unrolled: 1-line block ×3, first 2 shown]
	s_waitcnt lgkmcnt(0)
	s_waitcnt_vscnt null, 0x0
	s_barrier
	buffer_gl0_inv
	ds_read_b128 v[56:59], v169 offset:6272
	ds_read_b128 v[60:63], v169
	ds_read_b128 v[64:67], v169 offset:896
	ds_read_b128 v[68:71], v169 offset:5376
	;; [unrolled: 1-line block ×8, first 2 shown]
	s_waitcnt lgkmcnt(8)
	v_add_f64 v[56:57], v[60:61], -v[56:57]
	v_add_f64 v[58:59], v[62:63], -v[58:59]
	s_waitcnt lgkmcnt(5)
	v_add_f64 v[72:73], v[64:65], -v[72:73]
	v_add_f64 v[74:75], v[66:67], -v[74:75]
	;; [unrolled: 3-line block ×3, first 2 shown]
	ds_read_b128 v[88:91], v169 offset:3584
	ds_read_b128 v[100:103], v169 offset:4480
	;; [unrolled: 1-line block ×4, first 2 shown]
	v_add_f64 v[76:77], v[80:81], -v[76:77]
	v_add_f64 v[78:79], v[82:83], -v[78:79]
	s_waitcnt lgkmcnt(0)
	s_barrier
	buffer_gl0_inv
	v_fma_f64 v[60:61], v[60:61], 2.0, -v[56:57]
	v_fma_f64 v[62:63], v[62:63], 2.0, -v[58:59]
	;; [unrolled: 1-line block ×3, first 2 shown]
	v_add_f64 v[92:93], v[88:89], -v[92:93]
	v_add_f64 v[94:95], v[90:91], -v[94:95]
	v_fma_f64 v[66:67], v[66:67], 2.0, -v[74:75]
	v_add_f64 v[104:105], v[100:101], -v[104:105]
	v_add_f64 v[106:107], v[102:103], -v[106:107]
	;; [unrolled: 1-line block ×4, first 2 shown]
	v_fma_f64 v[80:81], v[80:81], 2.0, -v[76:77]
	v_fma_f64 v[82:83], v[82:83], 2.0, -v[78:79]
	;; [unrolled: 1-line block ×4, first 2 shown]
	ds_write_b128 v164, v[56:59] offset:16
	ds_write_b128 v164, v[60:63]
	ds_write_b128 v164, v[64:67] offset:1792
	v_fma_f64 v[112:113], v[88:89], 2.0, -v[92:93]
	v_fma_f64 v[114:115], v[90:91], 2.0, -v[94:95]
	v_add_nc_u32_e32 v88, 56, v168
	v_lshlrev_b32_e32 v61, 1, v168
	v_fma_f64 v[100:101], v[100:101], 2.0, -v[104:105]
	v_fma_f64 v[102:103], v[102:103], 2.0, -v[106:107]
	;; [unrolled: 1-line block ×3, first 2 shown]
	v_lshlrev_b32_e32 v0, 5, v88
	v_add_nc_u32_e32 v56, 0xe0, v61
	v_fma_f64 v[70:71], v[70:71], 2.0, -v[110:111]
	v_lshlrev_b32_e32 v166, 4, v61
	v_add_nc_u32_e32 v57, 0x150, v61
	buffer_store_dword v0, off, s[36:39], 0 offset:116 ; 4-byte Folded Spill
	ds_write_b128 v0, v[72:75] offset:16
	v_lshlrev_b32_e32 v0, 4, v56
	ds_write_b128 v166, v[80:83] offset:3584
	v_add_nc_u32_e32 v58, 0x1c0, v61
	v_add_nc_u32_e32 v59, 0x230, v61
	;; [unrolled: 1-line block ×3, first 2 shown]
	buffer_store_dword v0, off, s[36:39], 0 offset:112 ; 4-byte Folded Spill
	ds_write_b128 v0, v[76:79] offset:16
	ds_write_b128 v166, v[84:87] offset:5376
	v_lshlrev_b32_e32 v0, 4, v57
	v_and_b32_e32 v63, 1, v168
	v_lshlrev_b32_e32 v62, 1, v88
	buffer_store_dword v0, off, s[36:39], 0 offset:108 ; 4-byte Folded Spill
	ds_write_b128 v0, v[96:99] offset:16
	ds_write_b128 v166, v[112:115] offset:7168
	v_lshlrev_b32_e32 v0, 4, v58
	buffer_store_dword v0, off, s[36:39], 0 offset:104 ; 4-byte Folded Spill
	ds_write_b128 v0, v[92:95] offset:16
	ds_write_b128 v166, v[100:103] offset:8960
	;; [unrolled: 4-line block ×3, first 2 shown]
	v_lshlrev_b32_e32 v0, 4, v60
	buffer_store_dword v0, off, s[36:39], 0 offset:96 ; 4-byte Folded Spill
	ds_write_b128 v0, v[108:111] offset:16
	v_lshlrev_b32_e32 v0, 4, v63
	s_waitcnt lgkmcnt(0)
	s_waitcnt_vscnt null, 0x0
	s_barrier
	buffer_gl0_inv
	global_load_dwordx4 v[120:123], v0, s[10:11]
	ds_read_b128 v[64:67], v169 offset:6272
	ds_read_b128 v[68:71], v169 offset:5376
	v_and_or_b32 v0, 0x7c, v61, v63
	v_lshlrev_b32_e32 v0, 4, v0
	s_waitcnt vmcnt(0) lgkmcnt(1)
	v_mul_f64 v[1:2], v[66:67], v[122:123]
	v_mul_f64 v[3:4], v[64:65], v[122:123]
	v_fma_f64 v[1:2], v[64:65], v[120:121], -v[1:2]
	v_fma_f64 v[3:4], v[66:67], v[120:121], v[3:4]
	ds_read_b128 v[64:67], v169 offset:7168
	ds_read_b128 v[72:75], v169 offset:8064
	s_waitcnt lgkmcnt(1)
	v_mul_f64 v[5:6], v[66:67], v[122:123]
	v_mul_f64 v[7:8], v[64:65], v[122:123]
	s_waitcnt lgkmcnt(0)
	v_mul_f64 v[9:10], v[74:75], v[122:123]
	v_mul_f64 v[11:12], v[72:73], v[122:123]
	v_fma_f64 v[5:6], v[64:65], v[120:121], -v[5:6]
	v_fma_f64 v[7:8], v[66:67], v[120:121], v[7:8]
	v_fma_f64 v[9:10], v[72:73], v[120:121], -v[9:10]
	v_fma_f64 v[11:12], v[74:75], v[120:121], v[11:12]
	ds_read_b128 v[64:67], v169 offset:8960
	ds_read_b128 v[72:75], v169 offset:9856
	s_waitcnt lgkmcnt(1)
	v_mul_f64 v[13:14], v[66:67], v[122:123]
	v_mul_f64 v[15:16], v[64:65], v[122:123]
	s_waitcnt lgkmcnt(0)
	v_mul_f64 v[17:18], v[74:75], v[122:123]
	v_fma_f64 v[13:14], v[64:65], v[120:121], -v[13:14]
	v_mul_f64 v[64:65], v[72:73], v[122:123]
	v_fma_f64 v[15:16], v[66:67], v[120:121], v[15:16]
	v_fma_f64 v[17:18], v[72:73], v[120:121], -v[17:18]
	v_fma_f64 v[111:112], v[74:75], v[120:121], v[64:65]
	ds_read_b128 v[64:67], v169 offset:10752
	ds_read_b128 v[72:75], v169 offset:11648
	s_waitcnt lgkmcnt(1)
	v_mul_f64 v[76:77], v[66:67], v[122:123]
	v_fma_f64 v[113:114], v[64:65], v[120:121], -v[76:77]
	v_mul_f64 v[64:65], v[64:65], v[122:123]
	v_fma_f64 v[115:116], v[66:67], v[120:121], v[64:65]
	s_waitcnt lgkmcnt(0)
	v_mul_f64 v[64:65], v[74:75], v[122:123]
	v_fma_f64 v[117:118], v[72:73], v[120:121], -v[64:65]
	v_mul_f64 v[64:65], v[72:73], v[122:123]
	v_add_f64 v[124:125], v[68:69], -v[117:118]
	v_fma_f64 v[126:127], v[74:75], v[120:121], v[64:65]
	ds_read_b128 v[64:67], v169
	ds_read_b128 v[72:75], v169 offset:896
	ds_read_b128 v[84:87], v169 offset:1792
	ds_read_b128 v[89:92], v169 offset:2688
	ds_read_b128 v[101:104], v169 offset:3584
	ds_read_b128 v[105:108], v169 offset:4480
	buffer_store_dword v0, off, s[36:39], 0 offset:144 ; 4-byte Folded Spill
	s_waitcnt lgkmcnt(0)
	s_waitcnt_vscnt null, 0x0
	s_barrier
	buffer_gl0_inv
	v_add_f64 v[76:77], v[64:65], -v[1:2]
	v_add_f64 v[78:79], v[66:67], -v[3:4]
	;; [unrolled: 1-line block ×13, first 2 shown]
	v_fma_f64 v[68:69], v[68:69], 2.0, -v[124:125]
	v_fma_f64 v[64:65], v[64:65], 2.0, -v[76:77]
	;; [unrolled: 1-line block ×7, first 2 shown]
	ds_write_b128 v0, v[76:79] offset:32
	ds_write_b128 v0, v[64:67]
	v_and_or_b32 v0, 0xfc, v62, v63
	v_fma_f64 v[89:90], v[89:90], 2.0, -v[97:98]
	v_fma_f64 v[91:92], v[91:92], 2.0, -v[99:100]
	v_fma_f64 v[101:102], v[101:102], 2.0, -v[109:110]
	v_fma_f64 v[103:104], v[103:104], 2.0, -v[111:112]
	v_lshlrev_b32_e32 v0, 4, v0
	v_fma_f64 v[105:106], v[105:106], 2.0, -v[113:114]
	v_fma_f64 v[107:108], v[107:108], 2.0, -v[115:116]
	;; [unrolled: 1-line block ×3, first 2 shown]
	buffer_store_dword v0, off, s[36:39], 0 offset:140 ; 4-byte Folded Spill
	ds_write_b128 v0, v[72:75]
	ds_write_b128 v0, v[80:83] offset:32
	v_and_or_b32 v0, 0x1fc, v56, v63
	v_lshlrev_b32_e32 v0, 4, v0
	buffer_store_dword v0, off, s[36:39], 0 offset:136 ; 4-byte Folded Spill
	ds_write_b128 v0, v[84:87]
	ds_write_b128 v0, v[93:96] offset:32
	v_and_or_b32 v0, 0x1fc, v57, v63
	v_lshlrev_b32_e32 v0, 4, v0
	;; [unrolled: 5-line block ×4, first 2 shown]
	buffer_store_dword v0, off, s[36:39], 0 offset:124 ; 4-byte Folded Spill
	ds_write_b128 v0, v[105:108]
	ds_write_b128 v0, v[113:116] offset:32
	v_and_or_b32 v0, 0x3fc, v60, v63
	v_and_b32_e32 v63, 3, v168
	v_lshlrev_b32_e32 v0, 4, v0
	buffer_store_dword v0, off, s[36:39], 0 offset:120 ; 4-byte Folded Spill
	ds_write_b128 v0, v[68:71]
	ds_write_b128 v0, v[124:127] offset:32
	v_lshlrev_b32_e32 v0, 4, v63
	s_waitcnt lgkmcnt(0)
	s_waitcnt_vscnt null, 0x0
	s_barrier
	buffer_gl0_inv
	global_load_dwordx4 v[148:151], v0, s[10:11] offset:32
	ds_read_b128 v[64:67], v169 offset:6272
	ds_read_b128 v[68:71], v169 offset:5376
	v_and_or_b32 v0, 0x78, v61, v63
	v_lshlrev_b32_e32 v0, 4, v0
	s_waitcnt vmcnt(0) lgkmcnt(1)
	v_mul_f64 v[1:2], v[66:67], v[150:151]
	v_mul_f64 v[3:4], v[64:65], v[150:151]
	v_fma_f64 v[1:2], v[64:65], v[148:149], -v[1:2]
	v_fma_f64 v[3:4], v[66:67], v[148:149], v[3:4]
	ds_read_b128 v[64:67], v169 offset:7168
	ds_read_b128 v[72:75], v169 offset:8064
	s_waitcnt lgkmcnt(1)
	v_mul_f64 v[5:6], v[66:67], v[150:151]
	v_mul_f64 v[7:8], v[64:65], v[150:151]
	s_waitcnt lgkmcnt(0)
	v_mul_f64 v[9:10], v[74:75], v[150:151]
	v_mul_f64 v[11:12], v[72:73], v[150:151]
	v_fma_f64 v[5:6], v[64:65], v[148:149], -v[5:6]
	v_fma_f64 v[7:8], v[66:67], v[148:149], v[7:8]
	v_fma_f64 v[9:10], v[72:73], v[148:149], -v[9:10]
	v_fma_f64 v[11:12], v[74:75], v[148:149], v[11:12]
	ds_read_b128 v[64:67], v169 offset:8960
	ds_read_b128 v[72:75], v169 offset:9856
	s_waitcnt lgkmcnt(1)
	v_mul_f64 v[13:14], v[66:67], v[150:151]
	v_mul_f64 v[15:16], v[64:65], v[150:151]
	s_waitcnt lgkmcnt(0)
	v_mul_f64 v[17:18], v[74:75], v[150:151]
	v_fma_f64 v[13:14], v[64:65], v[148:149], -v[13:14]
	v_mul_f64 v[64:65], v[72:73], v[150:151]
	v_fma_f64 v[15:16], v[66:67], v[148:149], v[15:16]
	v_fma_f64 v[17:18], v[72:73], v[148:149], -v[17:18]
	v_fma_f64 v[111:112], v[74:75], v[148:149], v[64:65]
	ds_read_b128 v[64:67], v169 offset:10752
	ds_read_b128 v[72:75], v169 offset:11648
	s_waitcnt lgkmcnt(1)
	v_mul_f64 v[76:77], v[66:67], v[150:151]
	v_fma_f64 v[113:114], v[64:65], v[148:149], -v[76:77]
	v_mul_f64 v[64:65], v[64:65], v[150:151]
	v_fma_f64 v[115:116], v[66:67], v[148:149], v[64:65]
	s_waitcnt lgkmcnt(0)
	v_mul_f64 v[64:65], v[74:75], v[150:151]
	v_fma_f64 v[117:118], v[72:73], v[148:149], -v[64:65]
	v_mul_f64 v[64:65], v[72:73], v[150:151]
	v_add_f64 v[124:125], v[68:69], -v[117:118]
	v_fma_f64 v[126:127], v[74:75], v[148:149], v[64:65]
	ds_read_b128 v[64:67], v169
	ds_read_b128 v[72:75], v169 offset:896
	ds_read_b128 v[84:87], v169 offset:1792
	;; [unrolled: 1-line block ×5, first 2 shown]
	buffer_store_dword v0, off, s[36:39], 0 offset:172 ; 4-byte Folded Spill
	s_waitcnt lgkmcnt(0)
	s_waitcnt_vscnt null, 0x0
	s_barrier
	buffer_gl0_inv
	v_add_f64 v[76:77], v[64:65], -v[1:2]
	v_add_f64 v[78:79], v[66:67], -v[3:4]
	;; [unrolled: 1-line block ×13, first 2 shown]
	v_fma_f64 v[68:69], v[68:69], 2.0, -v[124:125]
	v_fma_f64 v[64:65], v[64:65], 2.0, -v[76:77]
	;; [unrolled: 1-line block ×7, first 2 shown]
	ds_write_b128 v0, v[76:79] offset:64
	ds_write_b128 v0, v[64:67]
	v_and_or_b32 v0, 0xf8, v62, v63
	v_fma_f64 v[89:90], v[89:90], 2.0, -v[97:98]
	v_fma_f64 v[91:92], v[91:92], 2.0, -v[99:100]
	;; [unrolled: 1-line block ×4, first 2 shown]
	v_lshlrev_b32_e32 v0, 4, v0
	v_fma_f64 v[105:106], v[105:106], 2.0, -v[113:114]
	v_fma_f64 v[107:108], v[107:108], 2.0, -v[115:116]
	v_fma_f64 v[70:71], v[70:71], 2.0, -v[126:127]
	buffer_store_dword v0, off, s[36:39], 0 offset:168 ; 4-byte Folded Spill
	ds_write_b128 v0, v[72:75]
	ds_write_b128 v0, v[80:83] offset:64
	v_and_or_b32 v0, 0x1f8, v56, v63
	v_lshlrev_b32_e32 v0, 4, v0
	buffer_store_dword v0, off, s[36:39], 0 offset:164 ; 4-byte Folded Spill
	ds_write_b128 v0, v[84:87]
	ds_write_b128 v0, v[93:96] offset:64
	v_and_or_b32 v0, 0x1f8, v57, v63
	v_lshlrev_b32_e32 v0, 4, v0
	;; [unrolled: 5-line block ×4, first 2 shown]
	buffer_store_dword v0, off, s[36:39], 0 offset:152 ; 4-byte Folded Spill
	ds_write_b128 v0, v[105:108]
	ds_write_b128 v0, v[113:116] offset:64
	v_and_or_b32 v0, 0x3f8, v60, v63
	v_and_b32_e32 v63, 7, v168
	v_lshlrev_b32_e32 v0, 4, v0
	buffer_store_dword v0, off, s[36:39], 0 offset:148 ; 4-byte Folded Spill
	ds_write_b128 v0, v[68:71]
	ds_write_b128 v0, v[124:127] offset:64
	v_lshlrev_b32_e32 v0, 4, v63
	s_waitcnt lgkmcnt(0)
	s_waitcnt_vscnt null, 0x0
	s_barrier
	buffer_gl0_inv
	global_load_dwordx4 v[152:155], v0, s[10:11] offset:96
	ds_read_b128 v[64:67], v169 offset:6272
	ds_read_b128 v[68:71], v169 offset:5376
	v_and_or_b32 v0, 0x70, v61, v63
	v_lshlrev_b32_e32 v199, 4, v0
	v_and_or_b32 v0, 0xf0, v62, v63
	v_lshlrev_b32_e32 v198, 4, v0
	;; [unrolled: 2-line block ×5, first 2 shown]
	s_waitcnt vmcnt(0) lgkmcnt(1)
	v_mul_f64 v[1:2], v[66:67], v[154:155]
	v_mul_f64 v[3:4], v[64:65], v[154:155]
	v_fma_f64 v[1:2], v[64:65], v[152:153], -v[1:2]
	v_fma_f64 v[3:4], v[66:67], v[152:153], v[3:4]
	ds_read_b128 v[64:67], v169 offset:7168
	ds_read_b128 v[72:75], v169 offset:8064
	s_waitcnt lgkmcnt(1)
	v_mul_f64 v[5:6], v[66:67], v[154:155]
	v_mul_f64 v[7:8], v[64:65], v[154:155]
	s_waitcnt lgkmcnt(0)
	v_mul_f64 v[9:10], v[74:75], v[154:155]
	v_mul_f64 v[11:12], v[72:73], v[154:155]
	v_fma_f64 v[5:6], v[64:65], v[152:153], -v[5:6]
	v_fma_f64 v[7:8], v[66:67], v[152:153], v[7:8]
	v_fma_f64 v[9:10], v[72:73], v[152:153], -v[9:10]
	v_fma_f64 v[11:12], v[74:75], v[152:153], v[11:12]
	ds_read_b128 v[64:67], v169 offset:8960
	ds_read_b128 v[72:75], v169 offset:9856
	s_waitcnt lgkmcnt(1)
	v_mul_f64 v[13:14], v[66:67], v[154:155]
	v_mul_f64 v[15:16], v[64:65], v[154:155]
	s_waitcnt lgkmcnt(0)
	v_mul_f64 v[17:18], v[74:75], v[154:155]
	v_fma_f64 v[13:14], v[64:65], v[152:153], -v[13:14]
	v_mul_f64 v[64:65], v[72:73], v[154:155]
	v_fma_f64 v[15:16], v[66:67], v[152:153], v[15:16]
	v_fma_f64 v[17:18], v[72:73], v[152:153], -v[17:18]
	v_fma_f64 v[111:112], v[74:75], v[152:153], v[64:65]
	ds_read_b128 v[64:67], v169 offset:10752
	ds_read_b128 v[72:75], v169 offset:11648
	s_waitcnt lgkmcnt(1)
	v_mul_f64 v[76:77], v[66:67], v[154:155]
	v_fma_f64 v[113:114], v[64:65], v[152:153], -v[76:77]
	v_mul_f64 v[64:65], v[64:65], v[154:155]
	v_fma_f64 v[115:116], v[66:67], v[152:153], v[64:65]
	s_waitcnt lgkmcnt(0)
	v_mul_f64 v[64:65], v[74:75], v[154:155]
	v_fma_f64 v[117:118], v[72:73], v[152:153], -v[64:65]
	v_mul_f64 v[64:65], v[72:73], v[154:155]
	v_add_f64 v[124:125], v[68:69], -v[117:118]
	v_fma_f64 v[126:127], v[74:75], v[152:153], v[64:65]
	ds_read_b128 v[64:67], v169
	ds_read_b128 v[72:75], v169 offset:896
	ds_read_b128 v[84:87], v169 offset:1792
	;; [unrolled: 1-line block ×5, first 2 shown]
	s_waitcnt lgkmcnt(0)
	s_barrier
	buffer_gl0_inv
	v_add_f64 v[76:77], v[64:65], -v[1:2]
	v_add_f64 v[80:81], v[72:73], -v[5:6]
	;; [unrolled: 1-line block ×13, first 2 shown]
	v_fma_f64 v[68:69], v[68:69], 2.0, -v[124:125]
	v_fma_f64 v[64:65], v[64:65], 2.0, -v[76:77]
	;; [unrolled: 1-line block ×14, first 2 shown]
	ds_write_b128 v199, v[76:79] offset:128
	ds_write_b128 v199, v[64:67]
	ds_write_b128 v198, v[72:75]
	ds_write_b128 v198, v[80:83] offset:128
	ds_write_b128 v165, v[84:87]
	ds_write_b128 v165, v[93:96] offset:128
	;; [unrolled: 2-line block ×3, first 2 shown]
	buffer_store_dword v0, off, s[36:39], 0 offset:180 ; 4-byte Folded Spill
	ds_write_b128 v0, v[101:104]
	ds_write_b128 v0, v[109:112] offset:128
	v_and_or_b32 v0, 0x2f0, v59, v63
	v_and_b32_e32 v90, 15, v168
	v_and_b32_e32 v89, 15, v88
	v_lshlrev_b32_e32 v167, 4, v0
	v_and_or_b32 v0, 0x3f0, v60, v63
	v_mad_u64_u32 v[1:2], null, 0x60, v90, s[10:11]
	ds_write_b128 v167, v[105:108]
	ds_write_b128 v167, v[113:116] offset:128
	v_lshlrev_b32_e32 v0, 4, v0
	v_mad_u64_u32 v[114:115], null, 0x60, v89, s[10:11]
	buffer_store_dword v0, off, s[36:39], 0 offset:176 ; 4-byte Folded Spill
	ds_write_b128 v0, v[68:71]
	ds_write_b128 v0, v[124:127] offset:128
	s_waitcnt lgkmcnt(0)
	s_waitcnt_vscnt null, 0x0
	s_barrier
	buffer_gl0_inv
	s_clause 0x1
	global_load_dwordx4 v[156:159], v[1:2], off offset:224
	global_load_dwordx4 v[160:163], v[1:2], off offset:240
	ds_read_b128 v[56:59], v169 offset:1792
	ds_read_b128 v[72:75], v169 offset:2688
	v_lshrrev_b32_e32 v0, 4, v168
	v_mul_u32_u24_e32 v0, 0x70, v0
	v_or_b32_e32 v0, v0, v90
	s_waitcnt vmcnt(1) lgkmcnt(1)
	v_mul_f64 v[3:4], v[58:59], v[158:159]
	v_mul_f64 v[5:6], v[56:57], v[158:159]
	v_fma_f64 v[3:4], v[56:57], v[156:157], -v[3:4]
	v_fma_f64 v[5:6], v[58:59], v[156:157], v[5:6]
	ds_read_b128 v[56:59], v169 offset:3584
	ds_read_b128 v[76:79], v169 offset:4480
	s_waitcnt vmcnt(0) lgkmcnt(1)
	v_mul_f64 v[7:8], v[58:59], v[162:163]
	v_mul_f64 v[9:10], v[56:57], v[162:163]
	v_fma_f64 v[7:8], v[56:57], v[160:161], -v[7:8]
	v_fma_f64 v[9:10], v[58:59], v[160:161], v[9:10]
	s_clause 0x1
	global_load_dwordx4 v[60:63], v[1:2], off offset:256
	global_load_dwordx4 v[56:59], v[1:2], off offset:272
	ds_read_b128 v[64:67], v169 offset:5376
	ds_read_b128 v[91:94], v169 offset:6272
	s_waitcnt vmcnt(1) lgkmcnt(1)
	v_mul_f64 v[11:12], v[66:67], v[62:63]
	v_mul_f64 v[13:14], v[64:65], v[62:63]
	v_fma_f64 v[11:12], v[64:65], v[60:61], -v[11:12]
	v_fma_f64 v[13:14], v[66:67], v[60:61], v[13:14]
	ds_read_b128 v[64:67], v169 offset:7168
	ds_read_b128 v[95:98], v169 offset:8064
	s_waitcnt vmcnt(0) lgkmcnt(1)
	v_mul_f64 v[15:16], v[66:67], v[58:59]
	v_mul_f64 v[17:18], v[64:65], v[58:59]
	v_fma_f64 v[15:16], v[64:65], v[56:57], -v[15:16]
	v_fma_f64 v[17:18], v[66:67], v[56:57], v[17:18]
	s_clause 0x1
	global_load_dwordx4 v[68:71], v[1:2], off offset:288
	global_load_dwordx4 v[64:67], v[1:2], off offset:304
	ds_read_b128 v[80:83], v169 offset:8960
	ds_read_b128 v[100:103], v169 offset:9856
	v_add_f64 v[118:119], v[11:12], v[15:16]
	v_add_f64 v[130:131], v[13:14], v[17:18]
	s_waitcnt vmcnt(1) lgkmcnt(1)
	v_mul_f64 v[1:2], v[82:83], v[70:71]
	v_fma_f64 v[1:2], v[80:81], v[68:69], -v[1:2]
	v_mul_f64 v[80:81], v[80:81], v[70:71]
	v_fma_f64 v[108:109], v[82:83], v[68:69], v[80:81]
	ds_read_b128 v[80:83], v169 offset:10752
	ds_read_b128 v[104:107], v169 offset:11648
	s_waitcnt vmcnt(0) lgkmcnt(1)
	v_mul_f64 v[84:85], v[82:83], v[66:67]
	v_add_f64 v[128:129], v[9:10], v[108:109]
	v_add_f64 v[9:10], v[9:10], -v[108:109]
	v_fma_f64 v[110:111], v[80:81], v[64:65], -v[84:85]
	v_mul_f64 v[80:81], v[80:81], v[66:67]
	v_fma_f64 v[112:113], v[82:83], v[64:65], v[80:81]
	s_clause 0x1
	global_load_dwordx4 v[84:87], v[114:115], off offset:224
	global_load_dwordx4 v[80:83], v[114:115], off offset:240
	v_add_f64 v[126:127], v[5:6], v[112:113]
	v_add_f64 v[5:6], v[5:6], -v[112:113]
	s_waitcnt vmcnt(1)
	v_mul_f64 v[116:117], v[74:75], v[86:87]
	v_fma_f64 v[132:133], v[72:73], v[84:85], -v[116:117]
	v_mul_f64 v[72:73], v[72:73], v[86:87]
	v_fma_f64 v[134:135], v[74:75], v[84:85], v[72:73]
	s_waitcnt vmcnt(0)
	v_mul_f64 v[72:73], v[78:79], v[82:83]
	v_fma_f64 v[136:137], v[76:77], v[80:81], -v[72:73]
	v_mul_f64 v[72:73], v[76:77], v[82:83]
	v_fma_f64 v[138:139], v[78:79], v[80:81], v[72:73]
	s_clause 0x1
	global_load_dwordx4 v[76:79], v[114:115], off offset:256
	global_load_dwordx4 v[72:75], v[114:115], off offset:272
	s_waitcnt vmcnt(1)
	v_mul_f64 v[116:117], v[93:94], v[78:79]
	v_fma_f64 v[140:141], v[91:92], v[76:77], -v[116:117]
	v_mul_f64 v[91:92], v[91:92], v[78:79]
	v_add_f64 v[116:117], v[7:8], v[1:2]
	v_add_f64 v[1:2], v[7:8], -v[1:2]
	v_add_f64 v[7:8], v[15:16], -v[11:12]
	;; [unrolled: 1-line block ×4, first 2 shown]
	v_fma_f64 v[142:143], v[93:94], v[76:77], v[91:92]
	s_waitcnt vmcnt(0)
	v_mul_f64 v[91:92], v[97:98], v[74:75]
	v_add_f64 v[15:16], v[118:119], -v[116:117]
	v_add_f64 v[108:109], v[11:12], v[9:10]
	v_fma_f64 v[144:145], v[95:96], v[72:73], -v[91:92]
	v_mul_f64 v[91:92], v[95:96], v[74:75]
	v_add_f64 v[226:227], v[108:109], v[5:6]
	v_add_f64 v[214:215], v[140:141], v[144:145]
	v_fma_f64 v[146:147], v[97:98], v[72:73], v[91:92]
	s_clause 0x1
	global_load_dwordx4 v[96:99], v[114:115], off offset:288
	global_load_dwordx4 v[92:95], v[114:115], off offset:304
	v_add_f64 v[222:223], v[142:143], v[146:147]
	s_waitcnt vmcnt(1)
	v_mul_f64 v[114:115], v[102:103], v[98:99]
	v_fma_f64 v[200:201], v[100:101], v[96:97], -v[114:115]
	v_mul_f64 v[100:101], v[100:101], v[98:99]
	v_add_f64 v[114:115], v[3:4], v[110:111]
	v_add_f64 v[3:4], v[3:4], -v[110:111]
	v_add_f64 v[110:111], v[11:12], -v[9:10]
	;; [unrolled: 1-line block ×4, first 2 shown]
	v_add_f64 v[212:213], v[136:137], v[200:201]
	v_fma_f64 v[202:203], v[102:103], v[96:97], v[100:101]
	s_waitcnt vmcnt(0) lgkmcnt(0)
	v_mul_f64 v[100:101], v[106:107], v[94:95]
	v_add_f64 v[13:14], v[116:117], -v[114:115]
	v_mul_f64 v[230:231], v[110:111], s[20:21]
	v_add_f64 v[220:221], v[138:139], v[202:203]
	v_fma_f64 v[204:205], v[104:105], v[92:93], -v[100:101]
	v_mul_f64 v[100:101], v[104:105], v[94:95]
	v_add_f64 v[210:211], v[132:133], v[204:205]
	v_fma_f64 v[206:207], v[106:107], v[92:93], v[100:101]
	v_add_f64 v[100:101], v[116:117], v[114:115]
	v_add_f64 v[170:171], v[212:213], v[210:211]
	;; [unrolled: 1-line block ×5, first 2 shown]
	v_add_f64 v[128:129], v[130:131], -v[128:129]
	v_add_f64 v[216:217], v[214:215], v[170:171]
	v_add_f64 v[170:171], v[220:221], v[218:219]
	;; [unrolled: 1-line block ×3, first 2 shown]
	ds_read_b128 v[100:103], v169
	ds_read_b128 v[104:107], v169 offset:896
	s_waitcnt lgkmcnt(0)
	s_barrier
	buffer_gl0_inv
	v_add_f64 v[100:101], v[100:101], v[124:125]
	v_add_f64 v[224:225], v[222:223], v[170:171]
	;; [unrolled: 1-line block ×3, first 2 shown]
	v_lshlrev_b32_e32 v170, 4, v0
	v_add_f64 v[104:105], v[104:105], v[216:217]
	v_lshrrev_b32_e32 v0, 4, v88
	v_mul_u32_u24_e32 v0, 0x70, v0
	v_or_b32_e32 v0, v0, v89
	v_lshlrev_b32_e32 v171, 4, v0
	v_fma_f64 v[90:91], v[124:125], s[12:13], v[100:101]
	v_add_f64 v[106:107], v[106:107], v[224:225]
	v_fma_f64 v[124:125], v[208:209], s[12:13], v[102:103]
	ds_write_b128 v170, v[100:103]
	v_add_f64 v[102:103], v[7:8], -v[1:2]
	v_add_f64 v[100:101], v[7:8], v[1:2]
	v_add_f64 v[1:2], v[1:2], -v[3:4]
	v_mul_f64 v[228:229], v[102:103], s[20:21]
	v_add_f64 v[208:209], v[100:101], v[3:4]
	v_mul_f64 v[100:101], v[15:16], s[6:7]
	v_mul_f64 v[102:103], v[128:129], s[6:7]
	v_add_f64 v[3:4], v[3:4], -v[7:8]
	v_mul_f64 v[7:8], v[9:10], s[16:17]
	v_fma_f64 v[108:109], v[1:2], s[14:15], -v[228:229]
	v_mul_f64 v[1:2], v[1:2], s[16:17]
	v_fma_f64 v[100:101], v[13:14], s[18:19], -v[100:101]
	v_fma_f64 v[102:103], v[17:18], s[18:19], -v[102:103]
	v_fma_f64 v[7:8], v[5:6], s[22:23], v[7:8]
	v_fma_f64 v[110:111], v[208:209], s[8:9], v[108:109]
	v_fma_f64 v[108:109], v[9:10], s[14:15], -v[230:231]
	v_add_f64 v[112:113], v[100:101], v[90:91]
	v_fma_f64 v[1:2], v[3:4], s[22:23], v[1:2]
	v_add_f64 v[116:117], v[102:103], v[124:125]
	v_fma_f64 v[7:8], v[226:227], s[8:9], v[7:8]
	v_fma_f64 v[108:109], v[226:227], s[8:9], v[108:109]
	;; [unrolled: 1-line block ×3, first 2 shown]
	v_add_f64 v[102:103], v[110:111], v[116:117]
	v_add_f64 v[110:111], v[116:117], -v[110:111]
	v_add_f64 v[100:101], v[112:113], -v[108:109]
	v_add_f64 v[108:109], v[108:109], v[112:113]
	v_add_f64 v[112:113], v[114:115], -v[118:119]
	v_add_f64 v[114:115], v[126:127], -v[130:131]
	v_mul_f64 v[9:10], v[112:113], s[24:25]
	v_mul_f64 v[11:12], v[114:115], s[24:25]
	v_fma_f64 v[13:14], v[13:14], s[26:27], -v[9:10]
	v_fma_f64 v[17:18], v[17:18], s[26:27], -v[11:12]
	v_add_f64 v[13:14], v[13:14], v[90:91]
	v_add_f64 v[17:18], v[17:18], v[124:125]
	;; [unrolled: 1-line block ×3, first 2 shown]
	v_add_f64 v[114:115], v[17:18], -v[1:2]
	v_add_f64 v[116:117], v[13:14], -v[7:8]
	v_add_f64 v[118:119], v[1:2], v[17:18]
	v_fma_f64 v[1:2], v[3:4], s[28:29], v[228:229]
	v_fma_f64 v[3:4], v[5:6], s[28:29], v[230:231]
	;; [unrolled: 1-line block ×4, first 2 shown]
	v_add_f64 v[9:10], v[146:147], -v[142:143]
	v_add_f64 v[11:12], v[134:135], -v[206:207]
	;; [unrolled: 1-line block ×5, first 2 shown]
	v_fma_f64 v[212:213], v[224:225], s[12:13], v[106:107]
	v_fma_f64 v[1:2], v[208:209], s[8:9], v[1:2]
	;; [unrolled: 1-line block ×3, first 2 shown]
	v_add_f64 v[5:6], v[5:6], v[90:91]
	v_add_f64 v[7:8], v[7:8], v[124:125]
	v_add_f64 v[90:91], v[222:223], -v[220:221]
	v_fma_f64 v[208:209], v[216:217], s[12:13], v[104:105]
	v_add_f64 v[124:125], v[3:4], v[5:6]
	v_add_f64 v[126:127], v[7:8], -v[1:2]
	v_add_f64 v[128:129], v[5:6], -v[3:4]
	v_add_f64 v[130:131], v[1:2], v[7:8]
	v_add_f64 v[1:2], v[136:137], -v[200:201]
	v_add_f64 v[3:4], v[144:145], -v[140:141]
	v_add_f64 v[5:6], v[132:133], -v[204:205]
	v_add_f64 v[7:8], v[138:139], -v[202:203]
	ds_write_b128 v170, v[124:127] offset:256
	ds_write_b128 v170, v[112:115] offset:512
	;; [unrolled: 1-line block ×6, first 2 shown]
	v_add_f64 v[134:135], v[3:4], -v[1:2]
	v_add_f64 v[132:133], v[3:4], v[1:2]
	v_add_f64 v[1:2], v[1:2], -v[5:6]
	v_add_f64 v[136:137], v[9:10], v[7:8]
	v_add_f64 v[138:139], v[9:10], -v[7:8]
	v_add_f64 v[7:8], v[7:8], -v[11:12]
	;; [unrolled: 1-line block ×3, first 2 shown]
	v_mul_f64 v[204:205], v[134:135], s[20:21]
	v_add_f64 v[200:201], v[132:133], v[5:6]
	v_mul_f64 v[132:133], v[15:16], s[6:7]
	v_add_f64 v[202:203], v[136:137], v[11:12]
	v_mul_f64 v[206:207], v[138:139], s[20:21]
	v_mul_f64 v[134:135], v[90:91], s[6:7]
	v_add_f64 v[5:6], v[11:12], -v[9:10]
	v_fma_f64 v[136:137], v[1:2], s[14:15], -v[204:205]
	v_mul_f64 v[1:2], v[1:2], s[16:17]
	v_fma_f64 v[132:133], v[13:14], s[18:19], -v[132:133]
	v_fma_f64 v[134:135], v[17:18], s[18:19], -v[134:135]
	v_fma_f64 v[138:139], v[200:201], s[8:9], v[136:137]
	v_fma_f64 v[136:137], v[7:8], s[14:15], -v[206:207]
	v_add_f64 v[140:141], v[132:133], v[208:209]
	v_mul_f64 v[7:8], v[7:8], s[16:17]
	v_fma_f64 v[1:2], v[3:4], s[22:23], v[1:2]
	v_add_f64 v[142:143], v[134:135], v[212:213]
	v_fma_f64 v[136:137], v[202:203], s[8:9], v[136:137]
	v_fma_f64 v[7:8], v[5:6], s[22:23], v[7:8]
	;; [unrolled: 1-line block ×3, first 2 shown]
	v_add_f64 v[134:135], v[138:139], v[142:143]
	v_add_f64 v[138:139], v[142:143], -v[138:139]
	v_add_f64 v[142:143], v[218:219], -v[222:223]
	;; [unrolled: 1-line block ×3, first 2 shown]
	v_add_f64 v[136:137], v[136:137], v[140:141]
	v_add_f64 v[140:141], v[210:211], -v[214:215]
	v_fma_f64 v[7:8], v[202:203], s[8:9], v[7:8]
	v_mul_f64 v[11:12], v[142:143], s[24:25]
	v_mul_f64 v[9:10], v[140:141], s[24:25]
	v_fma_f64 v[17:18], v[17:18], s[26:27], -v[11:12]
	v_fma_f64 v[13:14], v[13:14], s[26:27], -v[9:10]
	v_add_f64 v[17:18], v[17:18], v[212:213]
	v_add_f64 v[13:14], v[13:14], v[208:209]
	v_add_f64 v[142:143], v[17:18], -v[1:2]
	v_add_f64 v[146:147], v[1:2], v[17:18]
	v_fma_f64 v[1:2], v[3:4], s[28:29], v[204:205]
	v_fma_f64 v[3:4], v[5:6], s[28:29], v[206:207]
	;; [unrolled: 1-line block ×3, first 2 shown]
	v_add_f64 v[140:141], v[7:8], v[13:14]
	v_add_f64 v[144:145], v[13:14], -v[7:8]
	v_fma_f64 v[7:8], v[90:91], s[6:7], v[11:12]
	v_fma_f64 v[1:2], v[200:201], s[8:9], v[1:2]
	;; [unrolled: 1-line block ×3, first 2 shown]
	v_add_f64 v[5:6], v[5:6], v[208:209]
	v_add_f64 v[7:8], v[7:8], v[212:213]
	;; [unrolled: 1-line block ×3, first 2 shown]
	v_add_f64 v[204:205], v[5:6], -v[3:4]
	v_add_f64 v[202:203], v[7:8], -v[1:2]
	v_add_f64 v[206:207], v[1:2], v[7:8]
	v_mad_u64_u32 v[1:2], null, 0x60, v168, s[10:11]
	ds_write_b128 v171, v[104:107]
	ds_write_b128 v171, v[200:203] offset:256
	ds_write_b128 v171, v[140:143] offset:512
	;; [unrolled: 1-line block ×6, first 2 shown]
	s_waitcnt lgkmcnt(0)
	s_barrier
	buffer_gl0_inv
	s_clause 0x1
	global_load_dwordx4 v[88:91], v[1:2], off offset:1760
	global_load_dwordx4 v[100:103], v[1:2], off offset:1776
	ds_read_b128 v[104:107], v169 offset:1792
	ds_read_b128 v[124:127], v169 offset:2688
	s_waitcnt vmcnt(1) lgkmcnt(1)
	v_mul_f64 v[3:4], v[106:107], v[90:91]
	v_mul_f64 v[5:6], v[104:105], v[90:91]
	v_fma_f64 v[23:24], v[104:105], v[88:89], -v[3:4]
	v_fma_f64 v[28:29], v[106:107], v[88:89], v[5:6]
	ds_read_b128 v[104:107], v169 offset:3584
	ds_read_b128 v[132:135], v169 offset:4480
	s_waitcnt vmcnt(0) lgkmcnt(1)
	v_mul_f64 v[7:8], v[106:107], v[102:103]
	v_mul_f64 v[9:10], v[104:105], v[102:103]
	v_fma_f64 v[19:20], v[104:105], v[100:101], -v[7:8]
	v_fma_f64 v[21:22], v[106:107], v[100:101], v[9:10]
	s_clause 0x1
	global_load_dwordx4 v[108:111], v[1:2], off offset:1792
	global_load_dwordx4 v[104:107], v[1:2], off offset:1808
	ds_read_b128 v[112:115], v169 offset:5376
	ds_read_b128 v[140:143], v169 offset:6272
	s_waitcnt vmcnt(1) lgkmcnt(1)
	v_mul_f64 v[11:12], v[114:115], v[110:111]
	v_mul_f64 v[13:14], v[112:113], v[110:111]
	v_fma_f64 v[11:12], v[112:113], v[108:109], -v[11:12]
	v_fma_f64 v[13:14], v[114:115], v[108:109], v[13:14]
	ds_read_b128 v[112:115], v169 offset:7168
	ds_read_b128 v[144:147], v169 offset:8064
	s_waitcnt vmcnt(0) lgkmcnt(1)
	v_mul_f64 v[15:16], v[114:115], v[106:107]
	v_mul_f64 v[17:18], v[112:113], v[106:107]
	v_fma_f64 v[15:16], v[112:113], v[104:105], -v[15:16]
	v_fma_f64 v[17:18], v[114:115], v[104:105], v[17:18]
	s_clause 0x1
	global_load_dwordx4 v[116:119], v[1:2], off offset:1824
	global_load_dwordx4 v[112:115], v[1:2], off offset:1840
	ds_read_b128 v[128:131], v169 offset:8960
	ds_read_b128 v[200:203], v169 offset:9856
	v_add_co_u32 v1, vcc_lo, 0x1500, v1
	v_add_co_ci_u32_e32 v2, vcc_lo, 0, v2, vcc_lo
	v_add_f64 v[220:221], v[11:12], v[15:16]
	v_add_f64 v[10:11], v[15:16], -v[11:12]
	v_add_f64 v[228:229], v[13:14], v[17:18]
	v_add_f64 v[12:13], v[17:18], -v[13:14]
	s_waitcnt vmcnt(1) lgkmcnt(1)
	v_mul_f64 v[136:137], v[130:131], v[118:119]
	v_fma_f64 v[208:209], v[128:129], v[116:117], -v[136:137]
	v_mul_f64 v[128:129], v[128:129], v[118:119]
	v_add_f64 v[218:219], v[19:20], v[208:209]
	v_fma_f64 v[210:211], v[130:131], v[116:117], v[128:129]
	ds_read_b128 v[128:131], v169 offset:10752
	ds_read_b128 v[204:207], v169 offset:11648
	v_add_f64 v[19:20], v[19:20], -v[208:209]
	s_waitcnt vmcnt(0) lgkmcnt(1)
	v_mul_f64 v[136:137], v[130:131], v[114:115]
	v_add_f64 v[226:227], v[21:22], v[210:211]
	v_add_f64 v[21:22], v[21:22], -v[210:211]
	v_add_f64 v[210:211], v[10:11], -v[19:20]
	v_add_f64 v[208:209], v[10:11], v[19:20]
	v_fma_f64 v[212:213], v[128:129], v[112:113], -v[136:137]
	v_mul_f64 v[128:129], v[128:129], v[114:115]
	v_mul_f64 v[4:5], v[210:211], s[20:21]
	v_add_f64 v[15:16], v[23:24], -v[212:213]
	v_fma_f64 v[214:215], v[130:131], v[112:113], v[128:129]
	s_clause 0x1
	global_load_dwordx4 v[136:139], v[1:2], off offset:1760
	global_load_dwordx4 v[128:131], v[1:2], off offset:1776
	v_add_f64 v[19:20], v[19:20], -v[15:16]
	v_add_f64 v[224:225], v[28:29], v[214:215]
	v_add_f64 v[17:18], v[28:29], -v[214:215]
	v_add_f64 v[28:29], v[220:221], -v[218:219]
	;; [unrolled: 1-line block ×3, first 2 shown]
	v_mul_f64 v[38:39], v[214:215], s[20:21]
	s_waitcnt vmcnt(1)
	v_mul_f64 v[216:217], v[126:127], v[138:139]
	v_fma_f64 v[232:233], v[124:125], v[136:137], -v[216:217]
	v_mul_f64 v[124:125], v[124:125], v[138:139]
	v_fma_f64 v[234:235], v[126:127], v[136:137], v[124:125]
	s_waitcnt vmcnt(0)
	v_mul_f64 v[124:125], v[134:135], v[130:131]
	v_fma_f64 v[236:237], v[132:133], v[128:129], -v[124:125]
	v_mul_f64 v[124:125], v[132:133], v[130:131]
	v_fma_f64 v[238:239], v[134:135], v[128:129], v[124:125]
	s_clause 0x1
	global_load_dwordx4 v[132:135], v[1:2], off offset:1792
	global_load_dwordx4 v[124:127], v[1:2], off offset:1808
	s_waitcnt vmcnt(1)
	v_mul_f64 v[216:217], v[142:143], v[134:135]
	v_fma_f64 v[240:241], v[140:141], v[132:133], -v[216:217]
	v_mul_f64 v[140:141], v[140:141], v[134:135]
	v_add_f64 v[216:217], v[23:24], v[212:213]
	v_add_f64 v[212:213], v[12:13], v[21:22]
	v_add_f64 v[21:22], v[21:22], -v[17:18]
	v_fma_f64 v[242:243], v[142:143], v[132:133], v[140:141]
	s_waitcnt vmcnt(0)
	v_mul_f64 v[140:141], v[146:147], v[126:127]
	v_add_f64 v[23:24], v[218:219], -v[216:217]
	v_add_f64 v[34:35], v[212:213], v[17:18]
	v_fma_f64 v[212:213], v[19:20], s[14:15], -v[4:5]
	v_fma_f64 v[244:245], v[144:145], v[124:125], -v[140:141]
	v_mul_f64 v[140:141], v[144:145], v[126:127]
	v_add_f64 v[36:37], v[240:241], v[244:245]
	v_fma_f64 v[246:247], v[146:147], v[124:125], v[140:141]
	s_clause 0x1
	global_load_dwordx4 v[140:143], v[1:2], off offset:1824
	global_load_dwordx4 v[144:147], v[1:2], off offset:1840
	v_add_f64 v[8:9], v[242:243], v[246:247]
	s_waitcnt vmcnt(1)
	v_mul_f64 v[1:2], v[202:203], v[142:143]
	v_fma_f64 v[40:41], v[200:201], v[140:141], -v[1:2]
	v_mul_f64 v[200:201], v[200:201], v[142:143]
	v_add_f64 v[2:3], v[208:209], v[15:16]
	v_mul_f64 v[208:209], v[28:29], s[6:7]
	v_add_f64 v[14:15], v[15:16], -v[10:11]
	v_add_f64 v[16:17], v[17:18], -v[12:13]
	v_mul_f64 v[10:11], v[19:20], s[16:17]
	v_mul_f64 v[12:13], v[21:22], s[16:17]
	v_add_f64 v[6:7], v[236:237], v[40:41]
	v_fma_f64 v[248:249], v[202:203], v[140:141], v[200:201]
	s_waitcnt vmcnt(0) lgkmcnt(0)
	v_mul_f64 v[200:201], v[206:207], v[146:147]
	v_fma_f64 v[208:209], v[23:24], s[18:19], -v[208:209]
	v_fma_f64 v[214:215], v[2:3], s[8:9], v[212:213]
	v_fma_f64 v[212:213], v[21:22], s[14:15], -v[38:39]
	v_fma_f64 v[10:11], v[14:15], s[22:23], v[10:11]
	v_fma_f64 v[12:13], v[16:17], s[22:23], v[12:13]
	;; [unrolled: 1-line block ×4, first 2 shown]
	v_add_f64 v[26:27], v[238:239], v[248:249]
	v_fma_f64 v[250:251], v[204:205], v[144:145], -v[200:201]
	v_mul_f64 v[200:201], v[204:205], v[146:147]
	v_fma_f64 v[212:213], v[34:35], s[8:9], v[212:213]
	v_add_f64 v[254:255], v[232:233], v[250:251]
	v_fma_f64 v[252:253], v[206:207], v[144:145], v[200:201]
	v_add_f64 v[200:201], v[218:219], v[216:217]
	v_add_f64 v[218:219], v[226:227], -v[224:225]
	v_add_f64 v[196:197], v[6:7], v[254:255]
	v_add_f64 v[32:33], v[234:235], v[252:253]
	;; [unrolled: 1-line block ×4, first 2 shown]
	v_add_f64 v[226:227], v[228:229], -v[226:227]
	v_add_f64 v[196:197], v[36:37], v[196:197]
	v_add_f64 v[30:31], v[26:27], v[32:33]
	;; [unrolled: 1-line block ×3, first 2 shown]
	ds_read_b128 v[200:203], v169
	ds_read_b128 v[204:207], v169 offset:896
	v_mul_f64 v[210:211], v[226:227], s[6:7]
	s_waitcnt lgkmcnt(1)
	v_add_f64 v[200:201], v[200:201], v[222:223]
	v_add_f64 v[30:31], v[8:9], v[30:31]
	;; [unrolled: 1-line block ×3, first 2 shown]
	s_waitcnt lgkmcnt(0)
	v_add_f64 v[204:205], v[204:205], v[196:197]
	v_fma_f64 v[210:211], v[218:219], s[18:19], -v[210:211]
	v_fma_f64 v[222:223], v[222:223], s[12:13], v[200:201]
	v_add_f64 v[206:207], v[206:207], v[30:31]
	v_fma_f64 v[230:231], v[230:231], s[12:13], v[202:203]
	v_fma_f64 v[196:197], v[196:197], s[12:13], v[204:205]
	v_add_f64 v[0:1], v[208:209], v[222:223]
	v_fma_f64 v[30:31], v[30:31], s[12:13], v[206:207]
	v_add_f64 v[42:43], v[210:211], v[230:231]
	v_add_f64 v[208:209], v[0:1], -v[212:213]
	v_add_f64 v[212:213], v[212:213], v[0:1]
	v_add_f64 v[210:211], v[214:215], v[42:43]
	v_add_f64 v[214:215], v[42:43], -v[214:215]
	v_add_f64 v[0:1], v[216:217], -v[220:221]
	;; [unrolled: 1-line block ×3, first 2 shown]
	v_mul_f64 v[0:1], v[0:1], s[24:25]
	v_mul_f64 v[18:19], v[42:43], s[24:25]
	v_fma_f64 v[42:43], v[2:3], s[8:9], v[10:11]
	v_fma_f64 v[2:3], v[2:3], s[8:9], v[4:5]
	;; [unrolled: 1-line block ×4, first 2 shown]
	v_fma_f64 v[20:21], v[23:24], s[26:27], -v[0:1]
	v_fma_f64 v[0:1], v[28:29], s[6:7], v[0:1]
	v_fma_f64 v[16:17], v[226:227], s[6:7], v[18:19]
	v_fma_f64 v[22:23], v[218:219], s[26:27], -v[18:19]
	v_add_f64 v[18:19], v[234:235], -v[252:253]
	v_add_f64 v[12:13], v[20:21], v[222:223]
	v_add_f64 v[0:1], v[0:1], v[222:223]
	;; [unrolled: 1-line block ×4, first 2 shown]
	v_add_f64 v[16:17], v[246:247], -v[242:243]
	v_add_f64 v[22:23], v[26:27], -v[32:33]
	;; [unrolled: 1-line block ×4, first 2 shown]
	v_add_f64 v[216:217], v[10:11], v[12:13]
	v_add_f64 v[224:225], v[4:5], v[0:1]
	v_add_f64 v[226:227], v[14:15], -v[2:3]
	v_add_f64 v[228:229], v[0:1], -v[4:5]
	v_add_f64 v[230:231], v[2:3], v[14:15]
	v_add_f64 v[0:1], v[236:237], -v[40:41]
	v_add_f64 v[2:3], v[244:245], -v[240:241]
	;; [unrolled: 1-line block ×5, first 2 shown]
	v_add_f64 v[12:13], v[42:43], v[20:21]
	v_add_f64 v[14:15], v[238:239], -v[248:249]
	v_add_f64 v[20:21], v[6:7], -v[254:255]
	v_add_f64 v[6:7], v[36:37], -v[6:7]
	v_add_f64 v[36:37], v[254:255], -v[36:37]
	v_mul_f64 v[8:9], v[8:9], s[24:25]
	v_mul_f64 v[220:221], v[26:27], s[6:7]
	v_add_f64 v[34:35], v[2:3], -v[0:1]
	v_add_f64 v[28:29], v[2:3], v[0:1]
	v_add_f64 v[0:1], v[0:1], -v[4:5]
	v_add_f64 v[2:3], v[4:5], -v[2:3]
	v_add_f64 v[38:39], v[16:17], v[14:15]
	v_add_f64 v[40:41], v[16:17], -v[14:15]
	v_mul_f64 v[42:43], v[6:7], s[6:7]
	v_add_f64 v[14:15], v[14:15], -v[18:19]
	v_fma_f64 v[220:221], v[22:23], s[18:19], -v[220:221]
	v_mul_f64 v[34:35], v[34:35], s[20:21]
	v_add_f64 v[28:29], v[28:29], v[4:5]
	v_add_f64 v[4:5], v[18:19], -v[16:17]
	v_mul_f64 v[16:17], v[36:37], s[24:25]
	v_add_f64 v[38:39], v[38:39], v[18:19]
	v_mul_f64 v[40:41], v[40:41], s[20:21]
	v_fma_f64 v[42:43], v[20:21], s[18:19], -v[42:43]
	s_mov_b32 s21, 0x3fe11646
	v_add_f64 v[220:221], v[220:221], v[30:31]
	v_fma_f64 v[222:223], v[0:1], s[14:15], -v[34:35]
	v_mul_f64 v[0:1], v[0:1], s[16:17]
	v_fma_f64 v[18:19], v[20:21], s[26:27], -v[16:17]
	v_fma_f64 v[20:21], v[22:23], s[26:27], -v[8:9]
	;; [unrolled: 1-line block ×3, first 2 shown]
	v_mul_f64 v[14:15], v[14:15], s[16:17]
	v_add_f64 v[42:43], v[42:43], v[196:197]
	v_fma_f64 v[222:223], v[28:29], s[8:9], v[222:223]
	v_fma_f64 v[0:1], v[2:3], s[22:23], v[0:1]
	v_add_f64 v[18:19], v[18:19], v[196:197]
	v_add_f64 v[20:21], v[20:21], v[30:31]
	v_fma_f64 v[236:237], v[38:39], s[8:9], v[232:233]
	v_fma_f64 v[14:15], v[4:5], s[22:23], v[14:15]
	v_add_f64 v[234:235], v[222:223], v[220:221]
	v_fma_f64 v[0:1], v[28:29], s[8:9], v[0:1]
	v_add_f64 v[238:239], v[220:221], -v[222:223]
	v_add_f64 v[232:233], v[42:43], -v[236:237]
	v_fma_f64 v[14:15], v[38:39], s[8:9], v[14:15]
	v_add_f64 v[236:237], v[236:237], v[42:43]
	v_add_f64 v[242:243], v[20:21], -v[0:1]
	v_add_f64 v[246:247], v[0:1], v[20:21]
	v_fma_f64 v[0:1], v[2:3], s[28:29], v[34:35]
	v_fma_f64 v[2:3], v[4:5], s[28:29], v[40:41]
	;; [unrolled: 1-line block ×4, first 2 shown]
	v_add_f64 v[240:241], v[14:15], v[18:19]
	v_add_f64 v[244:245], v[18:19], -v[14:15]
	v_fma_f64 v[0:1], v[28:29], s[8:9], v[0:1]
	v_fma_f64 v[2:3], v[38:39], s[8:9], v[2:3]
	v_add_f64 v[4:5], v[4:5], v[196:197]
	v_add_f64 v[6:7], v[6:7], v[30:31]
	;; [unrolled: 1-line block ×3, first 2 shown]
	v_add_f64 v[250:251], v[6:7], -v[0:1]
	v_add_f64 v[252:253], v[4:5], -v[2:3]
	v_add_f64 v[254:255], v[0:1], v[6:7]
	ds_write_b128 v169, v[200:203]
	ds_write_b128 v169, v[204:207] offset:896
	ds_write_b128 v169, v[224:227] offset:1792
	;; [unrolled: 1-line block ×13, first 2 shown]
	s_waitcnt lgkmcnt(0)
	s_barrier
	buffer_gl0_inv
	s_clause 0x1
	global_load_dwordx4 v[200:203], v169, s[30:31]
	global_load_dwordx4 v[208:211], v169, s[30:31] offset:896
	ds_read_b128 v[204:207], v169
	ds_read_b128 v[212:215], v169 offset:896
	v_add_co_u32 v12, s9, s30, v169
	v_add_co_ci_u32_e64 v13, null, s31, 0, s9
	s_mov_b32 s9, 0xbfdc38aa
	s_waitcnt vmcnt(1) lgkmcnt(1)
	v_mul_f64 v[0:1], v[206:207], v[202:203]
	v_mul_f64 v[2:3], v[204:205], v[202:203]
	v_fma_f64 v[202:203], v[204:205], v[200:201], -v[0:1]
	v_add_co_u32 v0, vcc_lo, 0x1800, v12
	v_add_co_ci_u32_e32 v1, vcc_lo, 0, v13, vcc_lo
	s_clause 0x1
	global_load_dwordx4 v[216:219], v[0:1], off offset:128
	global_load_dwordx4 v[220:223], v[0:1], off offset:1920
	ds_read_b128 v[224:227], v169 offset:6272
	ds_read_b128 v[228:231], v169 offset:5376
	v_fma_f64 v[204:205], v[206:207], v[200:201], v[2:3]
	s_waitcnt vmcnt(1) lgkmcnt(1)
	v_mul_f64 v[0:1], v[226:227], v[218:219]
	v_mul_f64 v[2:3], v[224:225], v[218:219]
	v_fma_f64 v[224:225], v[224:225], v[216:217], -v[0:1]
	v_mul_f64 v[0:1], v[214:215], v[210:211]
	v_fma_f64 v[226:227], v[226:227], v[216:217], v[2:3]
	v_mul_f64 v[2:3], v[212:213], v[210:211]
	v_fma_f64 v[206:207], v[212:213], v[208:209], -v[0:1]
	buffer_load_dword v0, off, s[36:39], 0 offset:92 ; 4-byte Folded Reload
	v_fma_f64 v[208:209], v[214:215], v[208:209], v[2:3]
	s_waitcnt vmcnt(0)
	s_clause 0x1
	global_load_dwordx4 v[210:213], v0, s[30:31]
	global_load_dwordx4 v[214:217], v169, s[30:31] offset:1792
	ds_read_b128 v[232:235], v169 offset:7168
	ds_read_b128 v[236:239], v169 offset:8064
	s_waitcnt vmcnt(1) lgkmcnt(1)
	v_mul_f64 v[0:1], v[234:235], v[212:213]
	v_mul_f64 v[2:3], v[232:233], v[212:213]
	v_fma_f64 v[232:233], v[232:233], v[210:211], -v[0:1]
	v_fma_f64 v[234:235], v[234:235], v[210:211], v[2:3]
	ds_read_b128 v[210:213], v169 offset:1792
	ds_read_b128 v[240:243], v169 offset:2688
	s_waitcnt vmcnt(0) lgkmcnt(1)
	v_mul_f64 v[0:1], v[212:213], v[216:217]
	v_mul_f64 v[2:3], v[210:211], v[216:217]
	v_fma_f64 v[210:211], v[210:211], v[214:215], -v[0:1]
	v_mul_f64 v[0:1], v[238:239], v[222:223]
	v_fma_f64 v[212:213], v[212:213], v[214:215], v[2:3]
	v_mul_f64 v[2:3], v[236:237], v[222:223]
	v_fma_f64 v[214:215], v[236:237], v[220:221], -v[0:1]
	v_add_co_u32 v0, vcc_lo, 0x800, v12
	v_add_co_ci_u32_e32 v1, vcc_lo, 0, v13, vcc_lo
	v_fma_f64 v[216:217], v[238:239], v[220:221], v[2:3]
	s_clause 0x1
	global_load_dwordx4 v[218:221], v[0:1], off offset:640
	global_load_dwordx4 v[236:239], v[0:1], off offset:1536
	s_waitcnt vmcnt(1) lgkmcnt(0)
	v_mul_f64 v[0:1], v[242:243], v[220:221]
	v_mul_f64 v[2:3], v[240:241], v[220:221]
	v_fma_f64 v[220:221], v[240:241], v[218:219], -v[0:1]
	v_add_co_u32 v0, vcc_lo, 0x2000, v12
	v_add_co_ci_u32_e32 v1, vcc_lo, 0, v13, vcc_lo
	v_fma_f64 v[222:223], v[242:243], v[218:219], v[2:3]
	s_clause 0x1
	global_load_dwordx4 v[240:243], v[0:1], off offset:768
	global_load_dwordx4 v[244:247], v[0:1], off offset:1664
	ds_read_b128 v[248:251], v169 offset:8960
	ds_read_b128 v[252:255], v169 offset:9856
	s_waitcnt vmcnt(1) lgkmcnt(1)
	v_mul_f64 v[0:1], v[250:251], v[242:243]
	v_mul_f64 v[2:3], v[248:249], v[242:243]
	v_fma_f64 v[248:249], v[248:249], v[240:241], -v[0:1]
	v_fma_f64 v[250:251], v[250:251], v[240:241], v[2:3]
	ds_read_b128 v[240:243], v169 offset:3584
	ds_read_b128 v[0:3], v169 offset:4480
	s_waitcnt lgkmcnt(1)
	v_mul_f64 v[4:5], v[242:243], v[238:239]
	v_mul_f64 v[6:7], v[240:241], v[238:239]
	v_fma_f64 v[238:239], v[240:241], v[236:237], -v[4:5]
	s_waitcnt vmcnt(0)
	v_mul_f64 v[4:5], v[254:255], v[246:247]
	v_fma_f64 v[240:241], v[242:243], v[236:237], v[6:7]
	v_mul_f64 v[6:7], v[252:253], v[246:247]
	v_fma_f64 v[242:243], v[252:253], v[244:245], -v[4:5]
	v_add_co_u32 v4, vcc_lo, 0x1000, v12
	v_add_co_ci_u32_e32 v5, vcc_lo, 0, v13, vcc_lo
	v_fma_f64 v[244:245], v[254:255], v[244:245], v[6:7]
	s_clause 0x1
	global_load_dwordx4 v[252:255], v[4:5], off offset:384
	global_load_dwordx4 v[4:7], v[4:5], off offset:1280
	s_waitcnt vmcnt(1) lgkmcnt(0)
	v_mul_f64 v[8:9], v[2:3], v[254:255]
	v_mul_f64 v[10:11], v[0:1], v[254:255]
	v_fma_f64 v[16:17], v[0:1], v[252:253], -v[8:9]
	v_add_co_u32 v0, vcc_lo, 0x2800, v12
	v_add_co_ci_u32_e32 v1, vcc_lo, 0, v13, vcc_lo
	v_fma_f64 v[18:19], v[2:3], v[252:253], v[10:11]
	s_clause 0x1
	global_load_dwordx4 v[252:255], v[0:1], off offset:512
	global_load_dwordx4 v[12:15], v[0:1], off offset:1408
	ds_read_b128 v[0:3], v169 offset:10752
	ds_read_b128 v[8:11], v169 offset:11648
	s_waitcnt vmcnt(1) lgkmcnt(1)
	v_mul_f64 v[20:21], v[2:3], v[254:255]
	v_mul_f64 v[22:23], v[0:1], v[254:255]
	v_fma_f64 v[0:1], v[0:1], v[252:253], -v[20:21]
	v_mul_f64 v[20:21], v[230:231], v[6:7]
	v_mul_f64 v[6:7], v[228:229], v[6:7]
	v_fma_f64 v[2:3], v[2:3], v[252:253], v[22:23]
	v_fma_f64 v[228:229], v[228:229], v[4:5], -v[20:21]
	v_fma_f64 v[230:231], v[230:231], v[4:5], v[6:7]
	s_waitcnt vmcnt(0) lgkmcnt(0)
	v_mul_f64 v[4:5], v[10:11], v[14:15]
	v_mul_f64 v[6:7], v[8:9], v[14:15]
	v_fma_f64 v[4:5], v[8:9], v[12:13], -v[4:5]
	v_fma_f64 v[6:7], v[10:11], v[12:13], v[6:7]
	ds_write_b128 v169, v[202:205]
	ds_write_b128 v169, v[224:227] offset:6272
	ds_write_b128 v169, v[206:209] offset:896
	;; [unrolled: 1-line block ×13, first 2 shown]
	s_waitcnt lgkmcnt(0)
	s_barrier
	buffer_gl0_inv
	ds_read_b128 v[0:3], v169 offset:6272
	ds_read_b128 v[4:7], v169
	ds_read_b128 v[8:11], v169 offset:896
	ds_read_b128 v[12:15], v169 offset:5376
	;; [unrolled: 1-line block ×12, first 2 shown]
	s_waitcnt lgkmcnt(0)
	s_barrier
	buffer_gl0_inv
	v_add_f64 v[0:1], v[4:5], -v[0:1]
	v_add_f64 v[2:3], v[6:7], -v[2:3]
	;; [unrolled: 1-line block ×4, first 2 shown]
	v_fma_f64 v[4:5], v[4:5], 2.0, -v[0:1]
	v_fma_f64 v[6:7], v[6:7], 2.0, -v[2:3]
	;; [unrolled: 1-line block ×4, first 2 shown]
	ds_write_b128 v164, v[0:3] offset:16
	ds_write_b128 v164, v[4:7]
	ds_write_b128 v164, v[8:11] offset:1792
	s_clause 0x1
	buffer_load_dword v0, off, s[36:39], 0 offset:116
	buffer_load_dword v8, off, s[36:39], 0 offset:112
	v_add_f64 v[2:3], v[206:207], -v[202:203]
	v_fma_f64 v[6:7], v[206:207], 2.0, -v[2:3]
	s_waitcnt vmcnt(1)
	ds_write_b128 v0, v[16:19] offset:16
	v_add_f64 v[0:1], v[204:205], -v[200:201]
	v_fma_f64 v[4:5], v[204:205], 2.0, -v[0:1]
	ds_write_b128 v166, v[4:7] offset:3584
	buffer_load_dword v4, off, s[36:39], 0 offset:108 ; 4-byte Folded Reload
	s_waitcnt vmcnt(1)
	ds_write_b128 v8, v[0:3] offset:16
	v_add_f64 v[0:1], v[208:209], -v[212:213]
	v_add_f64 v[2:3], v[210:211], -v[214:215]
	v_fma_f64 v[8:9], v[208:209], 2.0, -v[0:1]
	v_fma_f64 v[10:11], v[210:211], 2.0, -v[2:3]
	ds_write_b128 v166, v[8:11] offset:5376
	buffer_load_dword v8, off, s[36:39], 0 offset:104 ; 4-byte Folded Reload
	s_waitcnt vmcnt(1)
	ds_write_b128 v4, v[0:3] offset:16
	v_add_f64 v[0:1], v[220:221], -v[216:217]
	v_add_f64 v[2:3], v[222:223], -v[218:219]
	v_fma_f64 v[4:5], v[220:221], 2.0, -v[0:1]
	;; [unrolled: 8-line block ×3, first 2 shown]
	v_fma_f64 v[10:11], v[226:227], 2.0, -v[2:3]
	s_waitcnt vmcnt(0)
	ds_write_b128 v4, v[0:3] offset:16
	v_add_f64 v[0:1], v[12:13], -v[232:233]
	v_add_f64 v[2:3], v[14:15], -v[234:235]
	v_fma_f64 v[4:5], v[12:13], 2.0, -v[0:1]
	v_fma_f64 v[6:7], v[14:15], 2.0, -v[2:3]
	ds_write_b128 v166, v[8:11] offset:8960
	ds_write_b128 v166, v[4:7] offset:10752
	buffer_load_dword v4, off, s[36:39], 0 offset:96 ; 4-byte Folded Reload
	s_waitcnt vmcnt(0)
	ds_write_b128 v4, v[0:3] offset:16
	s_waitcnt lgkmcnt(0)
	s_barrier
	buffer_gl0_inv
	ds_read_b128 v[0:3], v169 offset:6272
	ds_read_b128 v[4:7], v169 offset:5376
	s_waitcnt lgkmcnt(1)
	v_mul_f64 v[8:9], v[122:123], v[2:3]
	v_fma_f64 v[12:13], v[120:121], v[0:1], v[8:9]
	v_mul_f64 v[0:1], v[122:123], v[0:1]
	v_fma_f64 v[14:15], v[120:121], v[2:3], -v[0:1]
	ds_read_b128 v[0:3], v169 offset:7168
	ds_read_b128 v[8:11], v169 offset:8064
	s_waitcnt lgkmcnt(1)
	v_mul_f64 v[16:17], v[122:123], v[2:3]
	v_fma_f64 v[20:21], v[120:121], v[0:1], v[16:17]
	v_mul_f64 v[0:1], v[122:123], v[0:1]
	v_fma_f64 v[22:23], v[120:121], v[2:3], -v[0:1]
	s_waitcnt lgkmcnt(0)
	v_mul_f64 v[0:1], v[122:123], v[10:11]
	v_fma_f64 v[26:27], v[120:121], v[8:9], v[0:1]
	v_mul_f64 v[0:1], v[122:123], v[8:9]
	v_fma_f64 v[28:29], v[120:121], v[10:11], -v[0:1]
	ds_read_b128 v[0:3], v169 offset:8960
	ds_read_b128 v[8:11], v169 offset:9856
	s_waitcnt lgkmcnt(1)
	v_mul_f64 v[16:17], v[122:123], v[2:3]
	v_fma_f64 v[30:31], v[120:121], v[0:1], v[16:17]
	v_mul_f64 v[0:1], v[122:123], v[0:1]
	v_fma_f64 v[32:33], v[120:121], v[2:3], -v[0:1]
	;; [unrolled: 12-line block ×3, first 2 shown]
	s_waitcnt lgkmcnt(0)
	v_mul_f64 v[0:1], v[122:123], v[10:11]
	v_fma_f64 v[42:43], v[120:121], v[8:9], v[0:1]
	v_mul_f64 v[0:1], v[122:123], v[8:9]
	v_fma_f64 v[196:197], v[120:121], v[10:11], -v[0:1]
	ds_read_b128 v[0:3], v169
	ds_read_b128 v[8:11], v169 offset:896
	ds_read_b128 v[16:19], v169 offset:1792
	;; [unrolled: 1-line block ×5, first 2 shown]
	s_waitcnt lgkmcnt(0)
	s_barrier
	buffer_gl0_inv
	buffer_load_dword v24, off, s[36:39], 0 offset:144 ; 4-byte Folded Reload
	v_add_f64 v[12:13], v[0:1], -v[12:13]
	v_add_f64 v[14:15], v[2:3], -v[14:15]
	v_fma_f64 v[0:1], v[0:1], 2.0, -v[12:13]
	v_fma_f64 v[2:3], v[2:3], 2.0, -v[14:15]
	s_waitcnt vmcnt(0)
	ds_write_b128 v24, v[12:15] offset:32
	ds_write_b128 v24, v[0:3]
	buffer_load_dword v12, off, s[36:39], 0 offset:140 ; 4-byte Folded Reload
	v_add_f64 v[0:1], v[8:9], -v[20:21]
	v_add_f64 v[2:3], v[10:11], -v[22:23]
	v_fma_f64 v[8:9], v[8:9], 2.0, -v[0:1]
	v_fma_f64 v[10:11], v[10:11], 2.0, -v[2:3]
	s_waitcnt vmcnt(0)
	ds_write_b128 v12, v[8:11]
	ds_write_b128 v12, v[0:3] offset:32
	buffer_load_dword v12, off, s[36:39], 0 offset:136 ; 4-byte Folded Reload
	v_add_f64 v[0:1], v[16:17], -v[26:27]
	v_add_f64 v[2:3], v[18:19], -v[28:29]
	v_fma_f64 v[8:9], v[16:17], 2.0, -v[0:1]
	v_fma_f64 v[10:11], v[18:19], 2.0, -v[2:3]
	s_waitcnt vmcnt(0)
	ds_write_b128 v12, v[8:11]
	ds_write_b128 v12, v[0:3] offset:32
	;; [unrolled: 8-line block ×6, first 2 shown]
	s_waitcnt lgkmcnt(0)
	s_barrier
	buffer_gl0_inv
	ds_read_b128 v[0:3], v169 offset:6272
	ds_read_b128 v[4:7], v169 offset:5376
	s_waitcnt lgkmcnt(1)
	v_mul_f64 v[8:9], v[150:151], v[2:3]
	v_fma_f64 v[12:13], v[148:149], v[0:1], v[8:9]
	v_mul_f64 v[0:1], v[150:151], v[0:1]
	v_fma_f64 v[14:15], v[148:149], v[2:3], -v[0:1]
	ds_read_b128 v[0:3], v169 offset:7168
	ds_read_b128 v[8:11], v169 offset:8064
	s_waitcnt lgkmcnt(1)
	v_mul_f64 v[16:17], v[150:151], v[2:3]
	v_fma_f64 v[20:21], v[148:149], v[0:1], v[16:17]
	v_mul_f64 v[0:1], v[150:151], v[0:1]
	v_fma_f64 v[22:23], v[148:149], v[2:3], -v[0:1]
	s_waitcnt lgkmcnt(0)
	v_mul_f64 v[0:1], v[150:151], v[10:11]
	v_fma_f64 v[26:27], v[148:149], v[8:9], v[0:1]
	v_mul_f64 v[0:1], v[150:151], v[8:9]
	v_fma_f64 v[28:29], v[148:149], v[10:11], -v[0:1]
	ds_read_b128 v[0:3], v169 offset:8960
	ds_read_b128 v[8:11], v169 offset:9856
	s_waitcnt lgkmcnt(1)
	v_mul_f64 v[16:17], v[150:151], v[2:3]
	v_fma_f64 v[30:31], v[148:149], v[0:1], v[16:17]
	v_mul_f64 v[0:1], v[150:151], v[0:1]
	v_fma_f64 v[32:33], v[148:149], v[2:3], -v[0:1]
	;; [unrolled: 12-line block ×3, first 2 shown]
	s_waitcnt lgkmcnt(0)
	v_mul_f64 v[0:1], v[150:151], v[10:11]
	v_fma_f64 v[42:43], v[148:149], v[8:9], v[0:1]
	v_mul_f64 v[0:1], v[150:151], v[8:9]
	v_fma_f64 v[196:197], v[148:149], v[10:11], -v[0:1]
	ds_read_b128 v[0:3], v169
	ds_read_b128 v[8:11], v169 offset:896
	ds_read_b128 v[16:19], v169 offset:1792
	;; [unrolled: 1-line block ×5, first 2 shown]
	s_waitcnt lgkmcnt(0)
	s_barrier
	buffer_gl0_inv
	buffer_load_dword v24, off, s[36:39], 0 offset:172 ; 4-byte Folded Reload
	v_add_f64 v[12:13], v[0:1], -v[12:13]
	v_add_f64 v[14:15], v[2:3], -v[14:15]
	v_fma_f64 v[0:1], v[0:1], 2.0, -v[12:13]
	v_fma_f64 v[2:3], v[2:3], 2.0, -v[14:15]
	s_waitcnt vmcnt(0)
	ds_write_b128 v24, v[12:15] offset:64
	ds_write_b128 v24, v[0:3]
	buffer_load_dword v12, off, s[36:39], 0 offset:168 ; 4-byte Folded Reload
	v_add_f64 v[0:1], v[8:9], -v[20:21]
	v_add_f64 v[2:3], v[10:11], -v[22:23]
	v_fma_f64 v[8:9], v[8:9], 2.0, -v[0:1]
	v_fma_f64 v[10:11], v[10:11], 2.0, -v[2:3]
	s_waitcnt vmcnt(0)
	ds_write_b128 v12, v[8:11]
	ds_write_b128 v12, v[0:3] offset:64
	buffer_load_dword v12, off, s[36:39], 0 offset:164 ; 4-byte Folded Reload
	v_add_f64 v[0:1], v[16:17], -v[26:27]
	v_add_f64 v[2:3], v[18:19], -v[28:29]
	v_fma_f64 v[8:9], v[16:17], 2.0, -v[0:1]
	v_fma_f64 v[10:11], v[18:19], 2.0, -v[2:3]
	s_waitcnt vmcnt(0)
	ds_write_b128 v12, v[8:11]
	ds_write_b128 v12, v[0:3] offset:64
	;; [unrolled: 8-line block ×6, first 2 shown]
	s_waitcnt lgkmcnt(0)
	s_barrier
	buffer_gl0_inv
	ds_read_b128 v[0:3], v169 offset:6272
	ds_read_b128 v[4:7], v169 offset:5376
	s_waitcnt lgkmcnt(1)
	v_mul_f64 v[8:9], v[154:155], v[2:3]
	v_fma_f64 v[12:13], v[152:153], v[0:1], v[8:9]
	v_mul_f64 v[0:1], v[154:155], v[0:1]
	v_fma_f64 v[14:15], v[152:153], v[2:3], -v[0:1]
	ds_read_b128 v[0:3], v169 offset:7168
	ds_read_b128 v[8:11], v169 offset:8064
	s_waitcnt lgkmcnt(1)
	v_mul_f64 v[16:17], v[154:155], v[2:3]
	v_fma_f64 v[20:21], v[152:153], v[0:1], v[16:17]
	v_mul_f64 v[0:1], v[154:155], v[0:1]
	v_fma_f64 v[22:23], v[152:153], v[2:3], -v[0:1]
	s_waitcnt lgkmcnt(0)
	v_mul_f64 v[0:1], v[154:155], v[10:11]
	v_fma_f64 v[26:27], v[152:153], v[8:9], v[0:1]
	v_mul_f64 v[0:1], v[154:155], v[8:9]
	v_fma_f64 v[28:29], v[152:153], v[10:11], -v[0:1]
	ds_read_b128 v[0:3], v169 offset:8960
	ds_read_b128 v[8:11], v169 offset:9856
	s_waitcnt lgkmcnt(1)
	v_mul_f64 v[16:17], v[154:155], v[2:3]
	v_fma_f64 v[30:31], v[152:153], v[0:1], v[16:17]
	v_mul_f64 v[0:1], v[154:155], v[0:1]
	v_fma_f64 v[32:33], v[152:153], v[2:3], -v[0:1]
	;; [unrolled: 12-line block ×3, first 2 shown]
	s_waitcnt lgkmcnt(0)
	v_mul_f64 v[0:1], v[154:155], v[10:11]
	v_fma_f64 v[42:43], v[152:153], v[8:9], v[0:1]
	v_mul_f64 v[0:1], v[154:155], v[8:9]
	v_fma_f64 v[196:197], v[152:153], v[10:11], -v[0:1]
	ds_read_b128 v[0:3], v169
	ds_read_b128 v[8:11], v169 offset:896
	ds_read_b128 v[16:19], v169 offset:1792
	;; [unrolled: 1-line block ×5, first 2 shown]
	s_waitcnt lgkmcnt(0)
	s_barrier
	buffer_gl0_inv
	v_add_f64 v[12:13], v[0:1], -v[12:13]
	v_add_f64 v[14:15], v[2:3], -v[14:15]
	v_fma_f64 v[0:1], v[0:1], 2.0, -v[12:13]
	v_fma_f64 v[2:3], v[2:3], 2.0, -v[14:15]
	ds_write_b128 v199, v[12:15] offset:128
	ds_write_b128 v199, v[0:3]
	v_add_f64 v[0:1], v[8:9], -v[20:21]
	v_add_f64 v[2:3], v[10:11], -v[22:23]
	v_fma_f64 v[8:9], v[8:9], 2.0, -v[0:1]
	v_fma_f64 v[10:11], v[10:11], 2.0, -v[2:3]
	ds_write_b128 v198, v[8:11]
	ds_write_b128 v198, v[0:3] offset:128
	v_add_f64 v[0:1], v[16:17], -v[26:27]
	v_add_f64 v[2:3], v[18:19], -v[28:29]
	v_fma_f64 v[8:9], v[16:17], 2.0, -v[0:1]
	v_fma_f64 v[10:11], v[18:19], 2.0, -v[2:3]
	ds_write_b128 v165, v[8:11]
	ds_write_b128 v165, v[0:3] offset:128
	;; [unrolled: 6-line block ×3, first 2 shown]
	buffer_load_dword v12, off, s[36:39], 0 offset:180 ; 4-byte Folded Reload
	v_add_f64 v[0:1], v[148:149], -v[34:35]
	v_add_f64 v[2:3], v[150:151], -v[36:37]
	v_fma_f64 v[8:9], v[148:149], 2.0, -v[0:1]
	v_fma_f64 v[10:11], v[150:151], 2.0, -v[2:3]
	s_waitcnt vmcnt(0)
	ds_write_b128 v12, v[8:11]
	ds_write_b128 v12, v[0:3] offset:128
	v_add_f64 v[0:1], v[152:153], -v[38:39]
	v_add_f64 v[2:3], v[154:155], -v[40:41]
	v_fma_f64 v[8:9], v[152:153], 2.0, -v[0:1]
	v_fma_f64 v[10:11], v[154:155], 2.0, -v[2:3]
	ds_write_b128 v167, v[8:11]
	ds_write_b128 v167, v[0:3] offset:128
	buffer_load_dword v8, off, s[36:39], 0 offset:176 ; 4-byte Folded Reload
	v_add_f64 v[0:1], v[4:5], -v[42:43]
	v_add_f64 v[2:3], v[6:7], -v[196:197]
	v_fma_f64 v[4:5], v[4:5], 2.0, -v[0:1]
	v_fma_f64 v[6:7], v[6:7], 2.0, -v[2:3]
	s_waitcnt vmcnt(0)
	ds_write_b128 v8, v[4:7]
	ds_write_b128 v8, v[0:3] offset:128
	s_waitcnt lgkmcnt(0)
	s_barrier
	buffer_gl0_inv
	ds_read_b128 v[0:3], v169 offset:1792
	ds_read_b128 v[120:123], v169 offset:2688
	s_waitcnt lgkmcnt(1)
	v_mul_f64 v[4:5], v[158:159], v[2:3]
	v_fma_f64 v[165:166], v[156:157], v[0:1], v[4:5]
	v_mul_f64 v[0:1], v[158:159], v[0:1]
	v_fma_f64 v[156:157], v[156:157], v[2:3], -v[0:1]
	ds_read_b128 v[0:3], v169 offset:3584
	ds_read_b128 v[148:151], v169 offset:4480
	s_waitcnt lgkmcnt(1)
	v_mul_f64 v[4:5], v[162:163], v[2:3]
	v_fma_f64 v[158:159], v[160:161], v[0:1], v[4:5]
	v_mul_f64 v[0:1], v[162:163], v[0:1]
	v_fma_f64 v[160:161], v[160:161], v[2:3], -v[0:1]
	;; [unrolled: 7-line block ×4, first 2 shown]
	ds_read_b128 v[4:7], v169 offset:10752
	ds_read_b128 v[12:15], v169 offset:11648
	s_waitcnt lgkmcnt(1)
	v_mul_f64 v[24:25], v[66:67], v[6:7]
	v_add_f64 v[62:63], v[160:161], v[22:23]
	v_fma_f64 v[24:25], v[64:65], v[4:5], v[24:25]
	v_mul_f64 v[4:5], v[66:67], v[4:5]
	v_fma_f64 v[26:27], v[64:65], v[6:7], -v[4:5]
	v_mul_f64 v[4:5], v[86:87], v[122:123]
	v_add_f64 v[60:61], v[156:157], v[26:27]
	v_fma_f64 v[28:29], v[84:85], v[120:121], v[4:5]
	v_mul_f64 v[4:5], v[86:87], v[120:121]
	v_fma_f64 v[30:31], v[84:85], v[122:123], -v[4:5]
	v_mul_f64 v[4:5], v[82:83], v[150:151]
	v_fma_f64 v[32:33], v[80:81], v[148:149], v[4:5]
	v_mul_f64 v[4:5], v[82:83], v[148:149]
	v_fma_f64 v[34:35], v[80:81], v[150:151], -v[4:5]
	v_mul_f64 v[4:5], v[98:99], v[10:11]
	v_fma_f64 v[36:37], v[96:97], v[8:9], v[4:5]
	v_mul_f64 v[4:5], v[98:99], v[8:9]
	v_fma_f64 v[38:39], v[96:97], v[10:11], -v[4:5]
	s_waitcnt lgkmcnt(0)
	v_mul_f64 v[4:5], v[94:95], v[14:15]
	v_fma_f64 v[40:41], v[92:93], v[12:13], v[4:5]
	v_mul_f64 v[4:5], v[94:95], v[12:13]
	v_fma_f64 v[42:43], v[92:93], v[14:15], -v[4:5]
	ds_read_b128 v[4:7], v169 offset:7168
	ds_read_b128 v[8:11], v169 offset:8064
	s_waitcnt lgkmcnt(1)
	v_mul_f64 v[12:13], v[58:59], v[6:7]
	v_fma_f64 v[12:13], v[56:57], v[4:5], v[12:13]
	v_mul_f64 v[4:5], v[58:59], v[4:5]
	v_add_f64 v[58:59], v[16:17], v[12:13]
	v_fma_f64 v[14:15], v[56:57], v[6:7], -v[4:5]
	v_mul_f64 v[4:5], v[78:79], v[2:3]
	v_add_f64 v[56:57], v[165:166], v[24:25]
	v_add_f64 v[16:17], v[12:13], -v[16:17]
	v_add_f64 v[12:13], v[160:161], -v[22:23]
	;; [unrolled: 1-line block ×4, first 2 shown]
	v_add_f64 v[64:65], v[18:19], v[14:15]
	v_fma_f64 v[68:69], v[76:77], v[0:1], v[4:5]
	v_mul_f64 v[0:1], v[78:79], v[0:1]
	v_add_f64 v[18:19], v[14:15], -v[18:19]
	v_add_f64 v[78:79], v[62:63], -v[60:61]
	;; [unrolled: 1-line block ×3, first 2 shown]
	v_fma_f64 v[70:71], v[76:77], v[2:3], -v[0:1]
	s_waitcnt lgkmcnt(0)
	v_mul_f64 v[0:1], v[74:75], v[10:11]
	v_add_f64 v[80:81], v[18:19], v[12:13]
	v_add_f64 v[82:83], v[18:19], -v[12:13]
	v_fma_f64 v[76:77], v[72:73], v[8:9], v[0:1]
	v_mul_f64 v[0:1], v[74:75], v[8:9]
	v_add_f64 v[8:9], v[158:159], v[20:21]
	v_add_f64 v[20:21], v[158:159], -v[20:21]
	v_add_f64 v[80:81], v[80:81], v[24:25]
	v_add_f64 v[24:25], v[24:25], -v[18:19]
	v_mul_f64 v[18:19], v[84:85], s[14:15]
	v_mul_f64 v[82:83], v[82:83], s[20:21]
	v_fma_f64 v[72:73], v[72:73], v[10:11], -v[0:1]
	v_add_f64 v[0:1], v[8:9], v[56:57]
	v_add_f64 v[14:15], v[16:17], -v[20:21]
	v_add_f64 v[26:27], v[8:9], -v[56:57]
	;; [unrolled: 1-line block ×3, first 2 shown]
	v_add_f64 v[8:9], v[16:17], v[20:21]
	v_add_f64 v[20:21], v[20:21], -v[22:23]
	v_add_f64 v[56:57], v[56:57], -v[58:59]
	v_fma_f64 v[18:19], v[24:25], s[28:29], v[18:19]
	v_fma_f64 v[24:25], v[24:25], s[22:23], v[82:83]
	v_add_f64 v[10:11], v[58:59], v[0:1]
	v_add_f64 v[0:1], v[62:63], v[60:61]
	v_mul_f64 v[92:93], v[14:15], s[20:21]
	v_add_f64 v[58:59], v[60:61], -v[64:65]
	v_add_f64 v[86:87], v[8:9], v[22:23]
	v_mul_f64 v[8:9], v[74:75], s[6:7]
	v_add_f64 v[22:23], v[22:23], -v[16:17]
	v_mul_f64 v[16:17], v[20:21], s[14:15]
	v_add_f64 v[62:63], v[64:65], -v[62:63]
	v_fma_f64 v[24:25], v[80:81], s[8:9], v[24:25]
	v_add_f64 v[66:67], v[64:65], v[0:1]
	ds_read_b128 v[0:3], v169
	ds_read_b128 v[4:7], v169 offset:896
	v_mul_f64 v[60:61], v[58:59], s[24:25]
	v_fma_f64 v[64:65], v[80:81], s[8:9], v[18:19]
	v_fma_f64 v[8:9], v[26:27], s[18:19], -v[8:9]
	s_waitcnt lgkmcnt(0)
	v_fma_f64 v[16:17], v[22:23], s[28:29], v[16:17]
	v_mul_f64 v[12:13], v[62:63], s[6:7]
	v_fma_f64 v[22:23], v[22:23], s[22:23], v[92:93]
	s_barrier
	buffer_gl0_inv
	v_add_f64 v[0:1], v[0:1], v[10:11]
	v_add_f64 v[2:3], v[2:3], v[66:67]
	v_fma_f64 v[58:59], v[86:87], s[8:9], v[16:17]
	v_fma_f64 v[12:13], v[78:79], s[18:19], -v[12:13]
	v_fma_f64 v[22:23], v[86:87], s[8:9], v[22:23]
	v_fma_f64 v[94:95], v[10:11], s[12:13], v[0:1]
	v_fma_f64 v[10:11], v[20:21], s[16:17], -v[92:93]
	v_mul_f64 v[20:21], v[56:57], s[24:25]
	v_fma_f64 v[66:67], v[66:67], s[12:13], v[2:3]
	v_fma_f64 v[56:57], v[78:79], s[26:27], -v[60:61]
	v_add_f64 v[98:99], v[8:9], v[94:95]
	v_fma_f64 v[14:15], v[86:87], s[8:9], v[10:11]
	v_fma_f64 v[26:27], v[26:27], s[26:27], -v[20:21]
	v_fma_f64 v[20:21], v[74:75], s[6:7], v[20:21]
	v_add_f64 v[78:79], v[56:57], v[66:67]
	v_fma_f64 v[10:11], v[84:85], s[16:17], -v[82:83]
	v_add_f64 v[120:121], v[12:13], v[66:67]
	v_add_f64 v[26:27], v[26:27], v[94:95]
	;; [unrolled: 1-line block ×3, first 2 shown]
	v_add_f64 v[18:19], v[78:79], -v[58:59]
	v_fma_f64 v[96:97], v[80:81], s[8:9], v[10:11]
	v_add_f64 v[10:11], v[14:15], v[120:121]
	v_add_f64 v[14:15], v[120:121], -v[14:15]
	v_add_f64 v[58:59], v[58:59], v[78:79]
	v_add_f64 v[16:17], v[64:65], v[26:27]
	v_add_f64 v[56:57], v[26:27], -v[64:65]
	v_fma_f64 v[26:27], v[62:63], s[6:7], v[60:61]
	v_add_f64 v[60:61], v[24:25], v[20:21]
	v_add_f64 v[8:9], v[98:99], -v[96:97]
	v_add_f64 v[12:13], v[96:97], v[98:99]
	v_add_f64 v[64:65], v[20:21], -v[24:25]
	;; [unrolled: 2-line block ×4, first 2 shown]
	v_add_f64 v[66:67], v[22:23], v[26:27]
	ds_write_b128 v170, v[0:3]
	ds_write_b128 v170, v[60:63] offset:256
	ds_write_b128 v170, v[16:19] offset:512
	;; [unrolled: 1-line block ×6, first 2 shown]
	v_add_f64 v[12:13], v[28:29], v[40:41]
	v_add_f64 v[8:9], v[32:33], v[36:37]
	;; [unrolled: 1-line block ×5, first 2 shown]
	v_add_f64 v[26:27], v[28:29], -v[40:41]
	v_add_f64 v[28:29], v[72:73], -v[70:71]
	;; [unrolled: 1-line block ×3, first 2 shown]
	v_add_f64 v[0:1], v[8:9], v[12:13]
	v_add_f64 v[10:11], v[14:15], v[0:1]
	;; [unrolled: 1-line block ×5, first 2 shown]
	v_add_f64 v[4:5], v[32:33], -v[36:37]
	v_add_f64 v[36:37], v[18:19], -v[16:17]
	;; [unrolled: 1-line block ×4, first 2 shown]
	v_add_f64 v[2:3], v[6:7], v[22:23]
	v_add_f64 v[6:7], v[34:35], -v[38:39]
	v_add_f64 v[38:39], v[20:21], -v[18:19]
	v_add_f64 v[18:19], v[24:25], -v[4:5]
	v_add_f64 v[34:35], v[14:15], -v[8:9]
	v_add_f64 v[8:9], v[24:25], v[4:5]
	v_add_f64 v[40:41], v[4:5], -v[26:27]
	v_fma_f64 v[64:65], v[10:11], s[12:13], v[0:1]
	v_add_f64 v[14:15], v[16:17], -v[20:21]
	v_add_f64 v[20:21], v[26:27], -v[24:25]
	v_add_f64 v[24:25], v[30:31], -v[28:29]
	v_fma_f64 v[22:23], v[22:23], s[12:13], v[2:3]
	v_add_f64 v[4:5], v[28:29], v[6:7]
	v_add_f64 v[42:43], v[28:29], -v[6:7]
	v_mul_f64 v[62:63], v[18:19], s[20:21]
	v_add_f64 v[56:57], v[6:7], -v[30:31]
	v_add_f64 v[58:59], v[8:9], v[26:27]
	v_mul_f64 v[6:7], v[38:39], s[6:7]
	v_mul_f64 v[16:17], v[40:41], s[14:15]
	v_mul_f64 v[26:27], v[12:13], s[24:25]
	v_mul_f64 v[28:29], v[14:15], s[24:25]
	v_add_f64 v[60:61], v[4:5], v[30:31]
	v_mul_f64 v[42:43], v[42:43], s[20:21]
	v_mul_f64 v[4:5], v[34:35], s[6:7]
	v_fma_f64 v[8:9], v[40:41], s[16:17], -v[62:63]
	v_fma_f64 v[6:7], v[36:37], s[18:19], -v[6:7]
	v_fma_f64 v[12:13], v[20:21], s[28:29], v[16:17]
	v_fma_f64 v[16:17], v[32:33], s[26:27], -v[26:27]
	v_fma_f64 v[20:21], v[20:21], s[22:23], v[62:63]
	v_fma_f64 v[26:27], v[34:35], s[6:7], v[26:27]
	v_fma_f64 v[4:5], v[32:33], s[18:19], -v[4:5]
	v_fma_f64 v[10:11], v[58:59], s[8:9], v[8:9]
	v_fma_f64 v[8:9], v[56:57], s[16:17], -v[42:43]
	v_add_f64 v[66:67], v[6:7], v[22:23]
	v_fma_f64 v[30:31], v[58:59], s[8:9], v[12:13]
	v_add_f64 v[16:17], v[16:17], v[64:65]
	v_fma_f64 v[20:21], v[58:59], s[8:9], v[20:21]
	v_add_f64 v[26:27], v[26:27], v[64:65]
	v_add_f64 v[18:19], v[4:5], v[64:65]
	v_fma_f64 v[8:9], v[60:61], s[8:9], v[8:9]
	v_add_f64 v[6:7], v[10:11], v[66:67]
	v_add_f64 v[10:11], v[66:67], -v[10:11]
	v_add_f64 v[4:5], v[18:19], -v[8:9]
	v_add_f64 v[8:9], v[8:9], v[18:19]
	v_mul_f64 v[18:19], v[56:57], s[14:15]
	v_fma_f64 v[14:15], v[24:25], s[28:29], v[18:19]
	v_fma_f64 v[18:19], v[36:37], s[26:27], -v[28:29]
	v_fma_f64 v[24:25], v[24:25], s[22:23], v[42:43]
	v_fma_f64 v[28:29], v[38:39], s[6:7], v[28:29]
	v_fma_f64 v[32:33], v[60:61], s[8:9], v[14:15]
	v_add_f64 v[18:19], v[18:19], v[22:23]
	v_fma_f64 v[24:25], v[60:61], s[8:9], v[24:25]
	v_add_f64 v[22:23], v[28:29], v[22:23]
	v_add_f64 v[12:13], v[32:33], v[16:17]
	v_add_f64 v[14:15], v[18:19], -v[30:31]
	v_add_f64 v[56:57], v[24:25], v[26:27]
	v_add_f64 v[58:59], v[22:23], -v[20:21]
	v_add_f64 v[16:17], v[16:17], -v[32:33]
	v_add_f64 v[18:19], v[30:31], v[18:19]
	v_add_f64 v[60:61], v[26:27], -v[24:25]
	v_add_f64 v[62:63], v[20:21], v[22:23]
	ds_write_b128 v171, v[0:3]
	ds_write_b128 v171, v[56:59] offset:256
	ds_write_b128 v171, v[12:15] offset:512
	;; [unrolled: 1-line block ×6, first 2 shown]
	s_waitcnt lgkmcnt(0)
	s_barrier
	buffer_gl0_inv
	ds_read_b128 v[0:3], v169 offset:1792
	ds_read_b128 v[4:7], v169 offset:2688
	s_waitcnt lgkmcnt(1)
	v_mul_f64 v[8:9], v[90:91], v[2:3]
	v_fma_f64 v[20:21], v[88:89], v[0:1], v[8:9]
	v_mul_f64 v[0:1], v[90:91], v[0:1]
	v_fma_f64 v[22:23], v[88:89], v[2:3], -v[0:1]
	ds_read_b128 v[0:3], v169 offset:3584
	ds_read_b128 v[8:11], v169 offset:4480
	s_waitcnt lgkmcnt(1)
	v_mul_f64 v[12:13], v[102:103], v[2:3]
	v_fma_f64 v[24:25], v[100:101], v[0:1], v[12:13]
	v_mul_f64 v[0:1], v[102:103], v[0:1]
	v_fma_f64 v[26:27], v[100:101], v[2:3], -v[0:1]
	;; [unrolled: 7-line block ×6, first 2 shown]
	v_mul_f64 v[0:1], v[138:139], v[6:7]
	v_fma_f64 v[68:69], v[136:137], v[4:5], v[0:1]
	v_mul_f64 v[0:1], v[138:139], v[4:5]
	v_fma_f64 v[70:71], v[136:137], v[6:7], -v[0:1]
	v_mul_f64 v[0:1], v[146:147], v[18:19]
	v_fma_f64 v[72:73], v[144:145], v[16:17], v[0:1]
	v_mul_f64 v[0:1], v[146:147], v[16:17]
	v_add_f64 v[16:17], v[20:21], v[32:33]
	v_add_f64 v[20:21], v[20:21], -v[32:33]
	v_add_f64 v[92:93], v[68:69], v[72:73]
	v_fma_f64 v[74:75], v[144:145], v[18:19], -v[0:1]
	v_mul_f64 v[0:1], v[130:131], v[10:11]
	v_add_f64 v[18:19], v[36:37], v[40:41]
	v_add_f64 v[100:101], v[70:71], v[74:75]
	v_fma_f64 v[76:77], v[128:129], v[8:9], v[0:1]
	v_mul_f64 v[0:1], v[130:131], v[8:9]
	v_add_f64 v[8:9], v[24:25], v[28:29]
	v_add_f64 v[24:25], v[24:25], -v[28:29]
	v_add_f64 v[28:29], v[40:41], -v[36:37]
	v_fma_f64 v[78:79], v[128:129], v[10:11], -v[0:1]
	v_mul_f64 v[0:1], v[142:143], v[14:15]
	v_add_f64 v[32:33], v[8:9], -v[16:17]
	v_fma_f64 v[80:81], v[140:141], v[12:13], v[0:1]
	v_mul_f64 v[0:1], v[142:143], v[12:13]
	v_add_f64 v[12:13], v[26:27], v[30:31]
	v_add_f64 v[26:27], v[26:27], -v[30:31]
	v_add_f64 v[30:31], v[42:43], -v[38:39]
	v_add_f64 v[94:95], v[76:77], v[80:81]
	v_fma_f64 v[82:83], v[140:141], v[14:15], -v[0:1]
	v_mul_f64 v[0:1], v[134:135], v[58:59]
	v_add_f64 v[40:41], v[30:31], v[26:27]
	v_add_f64 v[102:103], v[78:79], v[82:83]
	v_fma_f64 v[84:85], v[132:133], v[56:57], v[0:1]
	v_mul_f64 v[0:1], v[134:135], v[56:57]
	v_add_f64 v[56:57], v[22:23], v[34:35]
	v_add_f64 v[22:23], v[22:23], -v[34:35]
	v_add_f64 v[34:35], v[18:19], -v[8:9]
	v_fma_f64 v[86:87], v[132:133], v[58:59], -v[0:1]
	s_waitcnt lgkmcnt(0)
	v_mul_f64 v[0:1], v[126:127], v[62:63]
	v_add_f64 v[58:59], v[38:39], v[42:43]
	v_add_f64 v[36:37], v[12:13], -v[56:57]
	v_add_f64 v[42:43], v[30:31], -v[26:27]
	;; [unrolled: 1-line block ×3, first 2 shown]
	v_add_f64 v[40:41], v[40:41], v[22:23]
	v_add_f64 v[22:23], v[22:23], -v[30:31]
	v_fma_f64 v[88:89], v[124:125], v[60:61], v[0:1]
	v_mul_f64 v[0:1], v[126:127], v[60:61]
	v_add_f64 v[60:61], v[94:95], v[92:93]
	v_add_f64 v[38:39], v[58:59], -v[12:13]
	v_mul_f64 v[42:43], v[42:43], s[20:21]
	v_add_f64 v[96:97], v[84:85], v[88:89]
	v_fma_f64 v[90:91], v[124:125], v[62:63], -v[0:1]
	v_add_f64 v[0:1], v[8:9], v[16:17]
	v_add_f64 v[8:9], v[28:29], v[24:25]
	v_add_f64 v[16:17], v[16:17], -v[18:19]
	v_add_f64 v[98:99], v[96:97], v[60:61]
	v_add_f64 v[104:105], v[86:87], v[90:91]
	;; [unrolled: 1-line block ×4, first 2 shown]
	v_add_f64 v[12:13], v[28:29], -v[24:25]
	v_add_f64 v[60:61], v[102:103], v[100:101]
	v_add_f64 v[24:25], v[24:25], -v[20:21]
	v_add_f64 v[18:19], v[56:57], -v[58:59]
	v_add_f64 v[14:15], v[58:59], v[0:1]
	ds_read_b128 v[0:3], v169
	ds_read_b128 v[4:7], v169 offset:896
	v_mul_f64 v[62:63], v[12:13], s[20:21]
	v_add_f64 v[106:107], v[104:105], v[60:61]
	v_add_f64 v[60:61], v[8:9], v[20:21]
	v_add_f64 v[20:21], v[20:21], -v[28:29]
	v_mul_f64 v[28:29], v[16:17], s[24:25]
	v_mul_f64 v[30:31], v[18:19], s[24:25]
	;; [unrolled: 1-line block ×4, first 2 shown]
	s_waitcnt lgkmcnt(1)
	v_add_f64 v[0:1], v[0:1], v[10:11]
	s_waitcnt lgkmcnt(0)
	v_add_f64 v[4:5], v[4:5], v[98:99]
	v_add_f64 v[2:3], v[2:3], v[14:15]
	v_add_f64 v[6:7], v[6:7], v[106:107]
	v_fma_f64 v[8:9], v[32:33], s[18:19], -v[8:9]
	v_fma_f64 v[12:13], v[36:37], s[18:19], -v[12:13]
	v_fma_f64 v[64:65], v[10:11], s[12:13], v[0:1]
	v_fma_f64 v[10:11], v[24:25], s[16:17], -v[62:63]
	v_fma_f64 v[66:67], v[14:15], s[12:13], v[2:3]
	v_mul_f64 v[24:25], v[24:25], s[14:15]
	v_add_f64 v[110:111], v[8:9], v[64:65]
	v_fma_f64 v[14:15], v[60:61], s[8:9], v[10:11]
	v_fma_f64 v[10:11], v[26:27], s[16:17], -v[42:43]
	v_mul_f64 v[26:27], v[26:27], s[14:15]
	v_fma_f64 v[16:17], v[20:21], s[28:29], v[24:25]
	v_fma_f64 v[24:25], v[32:33], s[26:27], -v[28:29]
	v_fma_f64 v[20:21], v[20:21], s[22:23], v[62:63]
	v_add_f64 v[112:113], v[12:13], v[66:67]
	v_fma_f64 v[108:109], v[40:41], s[8:9], v[10:11]
	v_fma_f64 v[18:19], v[22:23], s[28:29], v[26:27]
	v_fma_f64 v[26:27], v[36:37], s[26:27], -v[30:31]
	v_fma_f64 v[32:33], v[60:61], s[8:9], v[16:17]
	v_add_f64 v[24:25], v[24:25], v[64:65]
	v_fma_f64 v[22:23], v[22:23], s[22:23], v[42:43]
	v_fma_f64 v[20:21], v[60:61], s[8:9], v[20:21]
	v_add_f64 v[10:11], v[14:15], v[112:113]
	v_add_f64 v[14:15], v[112:113], -v[14:15]
	v_add_f64 v[8:9], v[110:111], -v[108:109]
	v_fma_f64 v[36:37], v[40:41], s[8:9], v[18:19]
	v_add_f64 v[26:27], v[26:27], v[66:67]
	v_add_f64 v[12:13], v[108:109], v[110:111]
	v_fma_f64 v[22:23], v[40:41], s[8:9], v[22:23]
	v_add_f64 v[16:17], v[36:37], v[24:25]
	v_add_f64 v[18:19], v[26:27], -v[32:33]
	v_add_f64 v[56:57], v[24:25], -v[36:37]
	v_add_f64 v[58:59], v[32:33], v[26:27]
	v_fma_f64 v[24:25], v[34:35], s[6:7], v[28:29]
	v_fma_f64 v[26:27], v[38:39], s[6:7], v[30:31]
	v_add_f64 v[28:29], v[90:91], -v[86:87]
	v_add_f64 v[30:31], v[70:71], -v[74:75]
	;; [unrolled: 1-line block ×6, first 2 shown]
	v_fma_f64 v[90:91], v[106:107], s[12:13], v[6:7]
	v_add_f64 v[24:25], v[24:25], v[64:65]
	v_add_f64 v[26:27], v[26:27], v[66:67]
	;; [unrolled: 1-line block ×3, first 2 shown]
	v_add_f64 v[62:63], v[26:27], -v[20:21]
	v_add_f64 v[64:65], v[24:25], -v[22:23]
	v_add_f64 v[66:67], v[20:21], v[26:27]
	v_add_f64 v[20:21], v[76:77], -v[80:81]
	v_add_f64 v[22:23], v[88:89], -v[84:85]
	v_add_f64 v[24:25], v[68:69], -v[72:73]
	v_add_f64 v[26:27], v[78:79], -v[82:83]
	v_fma_f64 v[88:89], v[98:99], s[12:13], v[4:5]
	v_add_f64 v[42:43], v[22:23], -v[20:21]
	v_add_f64 v[40:41], v[22:23], v[20:21]
	v_add_f64 v[20:21], v[20:21], -v[24:25]
	v_add_f64 v[68:69], v[28:29], v[26:27]
	v_add_f64 v[70:71], v[28:29], -v[26:27]
	v_add_f64 v[26:27], v[26:27], -v[30:31]
	;; [unrolled: 1-line block ×3, first 2 shown]
	v_mul_f64 v[42:43], v[42:43], s[20:21]
	v_add_f64 v[40:41], v[40:41], v[24:25]
	v_add_f64 v[24:25], v[30:31], -v[28:29]
	v_add_f64 v[84:85], v[68:69], v[30:31]
	v_mul_f64 v[86:87], v[70:71], s[20:21]
	v_mul_f64 v[68:69], v[34:35], s[6:7]
	;; [unrolled: 1-line block ×3, first 2 shown]
	v_fma_f64 v[72:73], v[20:21], s[16:17], -v[42:43]
	v_mul_f64 v[20:21], v[20:21], s[14:15]
	v_fma_f64 v[68:69], v[32:33], s[18:19], -v[68:69]
	v_fma_f64 v[70:71], v[36:37], s[18:19], -v[70:71]
	v_fma_f64 v[74:75], v[40:41], s[8:9], v[72:73]
	v_fma_f64 v[72:73], v[26:27], s[16:17], -v[86:87]
	v_mul_f64 v[26:27], v[26:27], s[14:15]
	v_fma_f64 v[20:21], v[22:23], s[28:29], v[20:21]
	v_add_f64 v[76:77], v[68:69], v[88:89]
	v_add_f64 v[78:79], v[70:71], v[90:91]
	v_fma_f64 v[72:73], v[84:85], s[8:9], v[72:73]
	v_fma_f64 v[26:27], v[24:25], s[28:29], v[26:27]
	v_fma_f64 v[20:21], v[40:41], s[8:9], v[20:21]
	v_add_f64 v[70:71], v[74:75], v[78:79]
	v_add_f64 v[74:75], v[78:79], -v[74:75]
	v_add_f64 v[78:79], v[100:101], -v[104:105]
	v_add_f64 v[68:69], v[76:77], -v[72:73]
	v_add_f64 v[72:73], v[72:73], v[76:77]
	v_add_f64 v[76:77], v[92:93], -v[96:97]
	v_fma_f64 v[26:27], v[84:85], s[8:9], v[26:27]
	v_mul_f64 v[30:31], v[78:79], s[24:25]
	v_mul_f64 v[28:29], v[76:77], s[24:25]
	v_fma_f64 v[36:37], v[36:37], s[26:27], -v[30:31]
	v_fma_f64 v[32:33], v[32:33], s[26:27], -v[28:29]
	v_add_f64 v[36:37], v[36:37], v[90:91]
	v_add_f64 v[32:33], v[32:33], v[88:89]
	v_add_f64 v[78:79], v[36:37], -v[20:21]
	v_add_f64 v[82:83], v[20:21], v[36:37]
	v_fma_f64 v[20:21], v[22:23], s[22:23], v[42:43]
	v_fma_f64 v[22:23], v[24:25], s[22:23], v[86:87]
	;; [unrolled: 1-line block ×3, first 2 shown]
	v_add_f64 v[76:77], v[26:27], v[32:33]
	v_add_f64 v[80:81], v[32:33], -v[26:27]
	v_fma_f64 v[26:27], v[38:39], s[6:7], v[30:31]
	s_mul_i32 s6, s0, 0x1880
	s_mul_hi_u32 s7, s0, 0xffffeb00
	v_fma_f64 v[20:21], v[40:41], s[8:9], v[20:21]
	v_fma_f64 v[22:23], v[84:85], s[8:9], v[22:23]
	v_add_f64 v[24:25], v[24:25], v[88:89]
	s_mul_i32 s8, s1, 0xffffeb00
	v_add_f64 v[26:27], v[26:27], v[90:91]
	v_add_f64 v[84:85], v[22:23], v[24:25]
	v_add_f64 v[88:89], v[24:25], -v[22:23]
	v_add_f64 v[86:87], v[26:27], -v[20:21]
	v_add_f64 v[90:91], v[20:21], v[26:27]
	ds_write_b128 v169, v[0:3]
	ds_write_b128 v169, v[4:7] offset:896
	ds_write_b128 v169, v[60:63] offset:1792
	;; [unrolled: 1-line block ×13, first 2 shown]
	s_waitcnt lgkmcnt(0)
	s_barrier
	buffer_gl0_inv
	ds_read_b128 v[0:3], v169
	ds_read_b128 v[4:7], v169 offset:896
	s_clause 0x3
	buffer_load_dword v12, off, s[36:39], 0 offset:76
	buffer_load_dword v13, off, s[36:39], 0 offset:80
	buffer_load_dword v14, off, s[36:39], 0 offset:84
	buffer_load_dword v15, off, s[36:39], 0 offset:88
	s_waitcnt vmcnt(0) lgkmcnt(1)
	v_mul_f64 v[8:9], v[14:15], v[2:3]
	v_mul_f64 v[10:11], v[14:15], v[0:1]
	v_fma_f64 v[16:17], v[12:13], v[0:1], v[8:9]
	v_fma_f64 v[18:19], v[12:13], v[2:3], -v[10:11]
	ds_read_b128 v[0:3], v169 offset:6272
	ds_read_b128 v[8:11], v169 offset:5376
	s_clause 0x3
	buffer_load_dword v22, off, s[36:39], 0 offset:60
	buffer_load_dword v23, off, s[36:39], 0 offset:64
	buffer_load_dword v24, off, s[36:39], 0 offset:68
	buffer_load_dword v25, off, s[36:39], 0 offset:72
	s_waitcnt lgkmcnt(0)
	v_mul_f64 v[64:65], v[194:195], v[8:9]
	v_fma_f64 v[64:65], v[192:193], v[10:11], -v[64:65]
	s_waitcnt vmcnt(0)
	v_mul_f64 v[12:13], v[24:25], v[2:3]
	v_fma_f64 v[20:21], v[22:23], v[0:1], v[12:13]
	s_clause 0x3
	buffer_load_dword v12, off, s[36:39], 0 offset:44
	buffer_load_dword v13, off, s[36:39], 0 offset:48
	;; [unrolled: 1-line block ×4, first 2 shown]
	v_mul_f64 v[0:1], v[24:25], v[0:1]
	v_fma_f64 v[22:23], v[22:23], v[2:3], -v[0:1]
	s_waitcnt vmcnt(0)
	v_mul_f64 v[0:1], v[14:15], v[6:7]
	v_mul_f64 v[2:3], v[14:15], v[4:5]
	v_fma_f64 v[24:25], v[12:13], v[4:5], v[0:1]
	v_fma_f64 v[26:27], v[12:13], v[6:7], -v[2:3]
	ds_read_b128 v[0:3], v169 offset:7168
	ds_read_b128 v[4:7], v169 offset:8064
	s_clause 0x3
	buffer_load_dword v30, off, s[36:39], 0 offset:28
	buffer_load_dword v31, off, s[36:39], 0 offset:32
	;; [unrolled: 1-line block ×4, first 2 shown]
	s_waitcnt vmcnt(0) lgkmcnt(1)
	v_mul_f64 v[12:13], v[32:33], v[2:3]
	v_fma_f64 v[28:29], v[30:31], v[0:1], v[12:13]
	v_mul_f64 v[0:1], v[32:33], v[0:1]
	v_fma_f64 v[30:31], v[30:31], v[2:3], -v[0:1]
	ds_read_b128 v[0:3], v169 offset:1792
	ds_read_b128 v[12:15], v169 offset:2688
	s_waitcnt lgkmcnt(1)
	v_mul_f64 v[32:33], v[190:191], v[2:3]
	v_fma_f64 v[32:33], v[188:189], v[0:1], v[32:33]
	v_mul_f64 v[0:1], v[190:191], v[0:1]
	v_fma_f64 v[34:35], v[188:189], v[2:3], -v[0:1]
	v_mul_f64 v[0:1], v[186:187], v[6:7]
	s_waitcnt lgkmcnt(0)
	v_mul_f64 v[2:3], v[182:183], v[12:13]
	v_fma_f64 v[36:37], v[184:185], v[4:5], v[0:1]
	v_mul_f64 v[0:1], v[186:187], v[4:5]
	v_fma_f64 v[42:43], v[180:181], v[14:15], -v[2:3]
	v_fma_f64 v[38:39], v[184:185], v[6:7], -v[0:1]
	v_mul_f64 v[0:1], v[182:183], v[14:15]
	v_fma_f64 v[40:41], v[180:181], v[12:13], v[0:1]
	ds_read_b128 v[0:3], v169 offset:8960
	ds_read_b128 v[4:7], v169 offset:9856
	s_waitcnt lgkmcnt(1)
	v_mul_f64 v[12:13], v[46:47], v[2:3]
	v_fma_f64 v[56:57], v[44:45], v[0:1], v[12:13]
	v_mul_f64 v[0:1], v[46:47], v[0:1]
	v_fma_f64 v[44:45], v[44:45], v[2:3], -v[0:1]
	ds_read_b128 v[0:3], v169 offset:3584
	ds_read_b128 v[12:15], v169 offset:4480
	s_waitcnt lgkmcnt(1)
	v_mul_f64 v[46:47], v[178:179], v[2:3]
	v_fma_f64 v[46:47], v[176:177], v[0:1], v[46:47]
	v_mul_f64 v[0:1], v[178:179], v[0:1]
	v_fma_f64 v[58:59], v[176:177], v[2:3], -v[0:1]
	v_mul_f64 v[0:1], v[174:175], v[6:7]
	s_waitcnt lgkmcnt(0)
	v_mul_f64 v[2:3], v[50:51], v[12:13]
	v_fma_f64 v[60:61], v[172:173], v[4:5], v[0:1]
	v_mul_f64 v[0:1], v[174:175], v[4:5]
	v_fma_f64 v[62:63], v[172:173], v[6:7], -v[0:1]
	v_mul_f64 v[0:1], v[50:51], v[14:15]
	v_fma_f64 v[50:51], v[48:49], v[12:13], v[0:1]
	v_fma_f64 v[48:49], v[48:49], v[14:15], -v[2:3]
	ds_read_b128 v[0:3], v169 offset:10752
	ds_read_b128 v[4:7], v169 offset:11648
	s_waitcnt lgkmcnt(1)
	v_mul_f64 v[12:13], v[54:55], v[2:3]
	v_mul_f64 v[14:15], v[54:55], v[0:1]
	v_fma_f64 v[54:55], v[52:53], v[0:1], v[12:13]
	s_clause 0x1
	buffer_load_dword v12, off, s[36:39], 0
	buffer_load_dword v13, off, s[36:39], 0 offset:4
	v_fma_f64 v[52:53], v[52:53], v[2:3], -v[14:15]
	v_mad_u64_u32 v[2:3], null, s0, v168, 0
	s_waitcnt vmcnt(1)
	v_mad_u64_u32 v[0:1], null, s2, v12, 0
	s_mul_i32 s2, s1, 0x1880
	s_waitcnt vmcnt(0)
	v_mad_u64_u32 v[12:13], null, s3, v12, v[1:2]
	s_waitcnt lgkmcnt(0)
	v_mad_u64_u32 v[13:14], null, s1, v168, v[3:4]
	v_mul_f64 v[14:15], v[194:195], v[10:11]
	s_mul_hi_u32 s3, s0, 0x1880
	s_add_i32 s3, s3, s2
	v_mov_b32_e32 v1, v12
	s_sub_i32 s2, s7, s0
	v_mov_b32_e32 v3, v13
	s_add_i32 s2, s2, s8
	v_lshlrev_b64 v[0:1], 4, v[0:1]
	v_lshlrev_b64 v[2:3], 4, v[2:3]
	v_add_co_u32 v84, vcc_lo, s4, v0
	v_add_co_ci_u32_e32 v85, vcc_lo, s5, v1, vcc_lo
	buffer_load_dword v1, off, s[36:39], 0 offset:8 ; 4-byte Folded Reload
	v_add_co_u32 v12, vcc_lo, v84, v2
	v_fma_f64 v[68:69], v[192:193], v[8:9], v[14:15]
	s_clause 0x3
	buffer_load_dword v8, off, s[36:39], 0 offset:12
	buffer_load_dword v9, off, s[36:39], 0 offset:16
	;; [unrolled: 1-line block ×4, first 2 shown]
	v_add_co_ci_u32_e32 v13, vcc_lo, v85, v3, vcc_lo
	v_add_co_u32 v70, vcc_lo, v12, s6
	s_mul_i32 s4, s0, 0xffffeb00
	v_add_co_ci_u32_e32 v71, vcc_lo, s3, v13, vcc_lo
	v_add_co_u32 v72, vcc_lo, v70, s4
	v_add_co_ci_u32_e32 v73, vcc_lo, s2, v71, vcc_lo
	v_mad_u64_u32 v[74:75], null, 0x380, s0, v[72:73]
	v_add_co_u32 v80, vcc_lo, v74, s6
	s_waitcnt vmcnt(4)
	v_mad_u64_u32 v[66:67], null, s0, v1, 0
	v_mov_b32_e32 v0, v67
	v_mad_u64_u32 v[0:1], null, s1, v1, v[0:1]
	v_mov_b32_e32 v1, v75
	;; [unrolled: 2-line block ×3, first 2 shown]
	s_waitcnt vmcnt(0)
	v_mul_f64 v[2:3], v[10:11], v[4:5]
	s_mov_b32 s0, 0xa72f0539
	s_mov_b32 s1, 0x3f54e5e0
	v_mul_f64 v[14:15], v[34:35], s[0:1]
	v_mov_b32_e32 v75, v1
	v_mul_f64 v[0:1], v[10:11], v[6:7]
	v_mul_f64 v[10:11], v[30:31], s[0:1]
	;; [unrolled: 1-line block ×4, first 2 shown]
	v_add_co_ci_u32_e32 v81, vcc_lo, s3, v75, vcc_lo
	v_add_co_u32 v82, vcc_lo, v80, s4
	v_add_co_ci_u32_e32 v83, vcc_lo, s2, v81, vcc_lo
	v_fma_f64 v[78:79], v[8:9], v[6:7], -v[2:3]
	v_mul_f64 v[2:3], v[18:19], s[0:1]
	v_mul_f64 v[6:7], v[26:27], s[0:1]
	;; [unrolled: 1-line block ×5, first 2 shown]
	v_fma_f64 v[76:77], v[8:9], v[4:5], v[0:1]
	v_mul_f64 v[0:1], v[16:17], s[0:1]
	v_lshlrev_b64 v[4:5], 4, v[66:67]
	v_add_co_u32 v66, vcc_lo, v82, s6
	v_add_co_ci_u32_e32 v67, vcc_lo, s3, v83, vcc_lo
	v_mul_f64 v[8:9], v[28:29], s[0:1]
	v_add_co_u32 v84, vcc_lo, v84, v4
	v_add_co_ci_u32_e32 v85, vcc_lo, v85, v5, vcc_lo
	v_add_co_u32 v86, vcc_lo, v66, s4
	v_add_co_ci_u32_e32 v87, vcc_lo, s2, v67, vcc_lo
	v_mul_f64 v[4:5], v[24:25], s[0:1]
	v_add_co_u32 v88, vcc_lo, v86, s6
	v_add_co_ci_u32_e32 v89, vcc_lo, s3, v87, vcc_lo
	v_mul_f64 v[16:17], v[36:37], s[0:1]
	v_add_co_u32 v90, vcc_lo, v88, s4
	global_store_dwordx4 v[12:13], v[0:3], off
	v_mul_f64 v[0:1], v[20:21], s[0:1]
	v_mul_f64 v[2:3], v[22:23], s[0:1]
	;; [unrolled: 1-line block ×7, first 2 shown]
	v_add_co_ci_u32_e32 v91, vcc_lo, s2, v89, vcc_lo
	v_mul_f64 v[32:33], v[60:61], s[0:1]
	v_mul_f64 v[36:37], v[50:51], s[0:1]
	;; [unrolled: 1-line block ×6, first 2 shown]
	v_add_co_u32 v52, vcc_lo, v90, s6
	v_mul_f64 v[48:49], v[76:77], s[0:1]
	v_mul_f64 v[50:51], v[78:79], s[0:1]
	v_add_co_ci_u32_e32 v53, vcc_lo, s3, v91, vcc_lo
	v_add_co_u32 v54, vcc_lo, v52, s4
	global_store_dwordx4 v[70:71], v[0:3], off
	v_add_co_ci_u32_e32 v55, vcc_lo, s2, v53, vcc_lo
	v_add_co_u32 v0, vcc_lo, v54, s6
	v_add_co_ci_u32_e32 v1, vcc_lo, s3, v55, vcc_lo
	global_store_dwordx4 v[72:73], v[4:7], off
	global_store_dwordx4 v[84:85], v[8:11], off
	;; [unrolled: 1-line block ×12, first 2 shown]
.LBB0_2:
	s_endpgm
	.section	.rodata,"a",@progbits
	.p2align	6, 0x0
	.amdhsa_kernel bluestein_single_fwd_len784_dim1_dp_op_CI_CI
		.amdhsa_group_segment_fixed_size 12544
		.amdhsa_private_segment_fixed_size 188
		.amdhsa_kernarg_size 104
		.amdhsa_user_sgpr_count 6
		.amdhsa_user_sgpr_private_segment_buffer 1
		.amdhsa_user_sgpr_dispatch_ptr 0
		.amdhsa_user_sgpr_queue_ptr 0
		.amdhsa_user_sgpr_kernarg_segment_ptr 1
		.amdhsa_user_sgpr_dispatch_id 0
		.amdhsa_user_sgpr_flat_scratch_init 0
		.amdhsa_user_sgpr_private_segment_size 0
		.amdhsa_wavefront_size32 1
		.amdhsa_uses_dynamic_stack 0
		.amdhsa_system_sgpr_private_segment_wavefront_offset 1
		.amdhsa_system_sgpr_workgroup_id_x 1
		.amdhsa_system_sgpr_workgroup_id_y 0
		.amdhsa_system_sgpr_workgroup_id_z 0
		.amdhsa_system_sgpr_workgroup_info 0
		.amdhsa_system_vgpr_workitem_id 0
		.amdhsa_next_free_vgpr 256
		.amdhsa_next_free_sgpr 40
		.amdhsa_reserve_vcc 1
		.amdhsa_reserve_flat_scratch 0
		.amdhsa_float_round_mode_32 0
		.amdhsa_float_round_mode_16_64 0
		.amdhsa_float_denorm_mode_32 3
		.amdhsa_float_denorm_mode_16_64 3
		.amdhsa_dx10_clamp 1
		.amdhsa_ieee_mode 1
		.amdhsa_fp16_overflow 0
		.amdhsa_workgroup_processor_mode 1
		.amdhsa_memory_ordered 1
		.amdhsa_forward_progress 0
		.amdhsa_shared_vgpr_count 0
		.amdhsa_exception_fp_ieee_invalid_op 0
		.amdhsa_exception_fp_denorm_src 0
		.amdhsa_exception_fp_ieee_div_zero 0
		.amdhsa_exception_fp_ieee_overflow 0
		.amdhsa_exception_fp_ieee_underflow 0
		.amdhsa_exception_fp_ieee_inexact 0
		.amdhsa_exception_int_div_zero 0
	.end_amdhsa_kernel
	.text
.Lfunc_end0:
	.size	bluestein_single_fwd_len784_dim1_dp_op_CI_CI, .Lfunc_end0-bluestein_single_fwd_len784_dim1_dp_op_CI_CI
                                        ; -- End function
	.section	.AMDGPU.csdata,"",@progbits
; Kernel info:
; codeLenInByte = 18832
; NumSgprs: 42
; NumVgprs: 256
; ScratchSize: 188
; MemoryBound: 0
; FloatMode: 240
; IeeeMode: 1
; LDSByteSize: 12544 bytes/workgroup (compile time only)
; SGPRBlocks: 5
; VGPRBlocks: 31
; NumSGPRsForWavesPerEU: 42
; NumVGPRsForWavesPerEU: 256
; Occupancy: 4
; WaveLimiterHint : 1
; COMPUTE_PGM_RSRC2:SCRATCH_EN: 1
; COMPUTE_PGM_RSRC2:USER_SGPR: 6
; COMPUTE_PGM_RSRC2:TRAP_HANDLER: 0
; COMPUTE_PGM_RSRC2:TGID_X_EN: 1
; COMPUTE_PGM_RSRC2:TGID_Y_EN: 0
; COMPUTE_PGM_RSRC2:TGID_Z_EN: 0
; COMPUTE_PGM_RSRC2:TIDIG_COMP_CNT: 0
	.text
	.p2alignl 6, 3214868480
	.fill 48, 4, 3214868480
	.type	__hip_cuid_a62c00fd0e0ec7a5,@object ; @__hip_cuid_a62c00fd0e0ec7a5
	.section	.bss,"aw",@nobits
	.globl	__hip_cuid_a62c00fd0e0ec7a5
__hip_cuid_a62c00fd0e0ec7a5:
	.byte	0                               ; 0x0
	.size	__hip_cuid_a62c00fd0e0ec7a5, 1

	.ident	"AMD clang version 19.0.0git (https://github.com/RadeonOpenCompute/llvm-project roc-6.4.0 25133 c7fe45cf4b819c5991fe208aaa96edf142730f1d)"
	.section	".note.GNU-stack","",@progbits
	.addrsig
	.addrsig_sym __hip_cuid_a62c00fd0e0ec7a5
	.amdgpu_metadata
---
amdhsa.kernels:
  - .args:
      - .actual_access:  read_only
        .address_space:  global
        .offset:         0
        .size:           8
        .value_kind:     global_buffer
      - .actual_access:  read_only
        .address_space:  global
        .offset:         8
        .size:           8
        .value_kind:     global_buffer
      - .actual_access:  read_only
        .address_space:  global
        .offset:         16
        .size:           8
        .value_kind:     global_buffer
      - .actual_access:  read_only
        .address_space:  global
        .offset:         24
        .size:           8
        .value_kind:     global_buffer
      - .actual_access:  read_only
        .address_space:  global
        .offset:         32
        .size:           8
        .value_kind:     global_buffer
      - .offset:         40
        .size:           8
        .value_kind:     by_value
      - .address_space:  global
        .offset:         48
        .size:           8
        .value_kind:     global_buffer
      - .address_space:  global
        .offset:         56
        .size:           8
        .value_kind:     global_buffer
      - .address_space:  global
        .offset:         64
        .size:           8
        .value_kind:     global_buffer
      - .address_space:  global
        .offset:         72
        .size:           8
        .value_kind:     global_buffer
      - .offset:         80
        .size:           4
        .value_kind:     by_value
      - .address_space:  global
        .offset:         88
        .size:           8
        .value_kind:     global_buffer
      - .address_space:  global
        .offset:         96
        .size:           8
        .value_kind:     global_buffer
    .group_segment_fixed_size: 12544
    .kernarg_segment_align: 8
    .kernarg_segment_size: 104
    .language:       OpenCL C
    .language_version:
      - 2
      - 0
    .max_flat_workgroup_size: 56
    .name:           bluestein_single_fwd_len784_dim1_dp_op_CI_CI
    .private_segment_fixed_size: 188
    .sgpr_count:     42
    .sgpr_spill_count: 0
    .symbol:         bluestein_single_fwd_len784_dim1_dp_op_CI_CI.kd
    .uniform_work_group_size: 1
    .uses_dynamic_stack: false
    .vgpr_count:     256
    .vgpr_spill_count: 46
    .wavefront_size: 32
    .workgroup_processor_mode: 1
amdhsa.target:   amdgcn-amd-amdhsa--gfx1030
amdhsa.version:
  - 1
  - 2
...

	.end_amdgpu_metadata
